;; amdgpu-corpus repo=ROCm/rocFFT kind=compiled arch=gfx906 opt=O3
	.text
	.amdgcn_target "amdgcn-amd-amdhsa--gfx906"
	.amdhsa_code_object_version 6
	.protected	fft_rtc_fwd_len1734_factors_17_17_6_wgs_102_tpt_102_halfLds_dp_ip_CI_unitstride_sbrr_C2R_dirReg ; -- Begin function fft_rtc_fwd_len1734_factors_17_17_6_wgs_102_tpt_102_halfLds_dp_ip_CI_unitstride_sbrr_C2R_dirReg
	.globl	fft_rtc_fwd_len1734_factors_17_17_6_wgs_102_tpt_102_halfLds_dp_ip_CI_unitstride_sbrr_C2R_dirReg
	.p2align	8
	.type	fft_rtc_fwd_len1734_factors_17_17_6_wgs_102_tpt_102_halfLds_dp_ip_CI_unitstride_sbrr_C2R_dirReg,@function
fft_rtc_fwd_len1734_factors_17_17_6_wgs_102_tpt_102_halfLds_dp_ip_CI_unitstride_sbrr_C2R_dirReg: ; @fft_rtc_fwd_len1734_factors_17_17_6_wgs_102_tpt_102_halfLds_dp_ip_CI_unitstride_sbrr_C2R_dirReg
; %bb.0:
	s_load_dwordx2 s[12:13], s[4:5], 0x50
	s_load_dwordx4 s[8:11], s[4:5], 0x0
	s_load_dwordx2 s[2:3], s[4:5], 0x18
	v_mul_u32_u24_e32 v1, 0x283, v0
	v_add_u32_sdwa v5, s6, v1 dst_sel:DWORD dst_unused:UNUSED_PAD src0_sel:DWORD src1_sel:WORD_1
	v_mov_b32_e32 v3, 0
	s_waitcnt lgkmcnt(0)
	v_cmp_lt_u64_e64 s[0:1], s[10:11], 2
	v_mov_b32_e32 v1, 0
	v_mov_b32_e32 v6, v3
	s_and_b64 vcc, exec, s[0:1]
	v_mov_b32_e32 v2, 0
	s_cbranch_vccnz .LBB0_8
; %bb.1:
	s_load_dwordx2 s[0:1], s[4:5], 0x10
	s_add_u32 s6, s2, 8
	s_addc_u32 s7, s3, 0
	v_mov_b32_e32 v1, 0
	v_mov_b32_e32 v2, 0
	s_waitcnt lgkmcnt(0)
	s_add_u32 s14, s0, 8
	s_addc_u32 s15, s1, 0
	s_mov_b64 s[16:17], 1
.LBB0_2:                                ; =>This Inner Loop Header: Depth=1
	s_load_dwordx2 s[18:19], s[14:15], 0x0
                                        ; implicit-def: $vgpr7_vgpr8
	s_waitcnt lgkmcnt(0)
	v_or_b32_e32 v4, s19, v6
	v_cmp_ne_u64_e32 vcc, 0, v[3:4]
	s_and_saveexec_b64 s[0:1], vcc
	s_xor_b64 s[20:21], exec, s[0:1]
	s_cbranch_execz .LBB0_4
; %bb.3:                                ;   in Loop: Header=BB0_2 Depth=1
	v_cvt_f32_u32_e32 v4, s18
	v_cvt_f32_u32_e32 v7, s19
	s_sub_u32 s0, 0, s18
	s_subb_u32 s1, 0, s19
	v_mac_f32_e32 v4, 0x4f800000, v7
	v_rcp_f32_e32 v4, v4
	v_mul_f32_e32 v4, 0x5f7ffffc, v4
	v_mul_f32_e32 v7, 0x2f800000, v4
	v_trunc_f32_e32 v7, v7
	v_mac_f32_e32 v4, 0xcf800000, v7
	v_cvt_u32_f32_e32 v7, v7
	v_cvt_u32_f32_e32 v4, v4
	v_mul_lo_u32 v8, s0, v7
	v_mul_hi_u32 v9, s0, v4
	v_mul_lo_u32 v11, s1, v4
	v_mul_lo_u32 v10, s0, v4
	v_add_u32_e32 v8, v9, v8
	v_add_u32_e32 v8, v8, v11
	v_mul_hi_u32 v9, v4, v10
	v_mul_lo_u32 v11, v4, v8
	v_mul_hi_u32 v13, v4, v8
	v_mul_hi_u32 v12, v7, v10
	v_mul_lo_u32 v10, v7, v10
	v_mul_hi_u32 v14, v7, v8
	v_add_co_u32_e32 v9, vcc, v9, v11
	v_addc_co_u32_e32 v11, vcc, 0, v13, vcc
	v_mul_lo_u32 v8, v7, v8
	v_add_co_u32_e32 v9, vcc, v9, v10
	v_addc_co_u32_e32 v9, vcc, v11, v12, vcc
	v_addc_co_u32_e32 v10, vcc, 0, v14, vcc
	v_add_co_u32_e32 v8, vcc, v9, v8
	v_addc_co_u32_e32 v9, vcc, 0, v10, vcc
	v_add_co_u32_e32 v4, vcc, v4, v8
	v_addc_co_u32_e32 v7, vcc, v7, v9, vcc
	v_mul_lo_u32 v8, s0, v7
	v_mul_hi_u32 v9, s0, v4
	v_mul_lo_u32 v10, s1, v4
	v_mul_lo_u32 v11, s0, v4
	v_add_u32_e32 v8, v9, v8
	v_add_u32_e32 v8, v8, v10
	v_mul_lo_u32 v12, v4, v8
	v_mul_hi_u32 v13, v4, v11
	v_mul_hi_u32 v14, v4, v8
	;; [unrolled: 1-line block ×3, first 2 shown]
	v_mul_lo_u32 v11, v7, v11
	v_mul_hi_u32 v9, v7, v8
	v_add_co_u32_e32 v12, vcc, v13, v12
	v_addc_co_u32_e32 v13, vcc, 0, v14, vcc
	v_mul_lo_u32 v8, v7, v8
	v_add_co_u32_e32 v11, vcc, v12, v11
	v_addc_co_u32_e32 v10, vcc, v13, v10, vcc
	v_addc_co_u32_e32 v9, vcc, 0, v9, vcc
	v_add_co_u32_e32 v8, vcc, v10, v8
	v_addc_co_u32_e32 v9, vcc, 0, v9, vcc
	v_add_co_u32_e32 v4, vcc, v4, v8
	v_addc_co_u32_e32 v9, vcc, v7, v9, vcc
	v_mad_u64_u32 v[7:8], s[0:1], v5, v9, 0
	v_mul_hi_u32 v10, v5, v4
	v_add_co_u32_e32 v11, vcc, v10, v7
	v_addc_co_u32_e32 v12, vcc, 0, v8, vcc
	v_mad_u64_u32 v[7:8], s[0:1], v6, v4, 0
	v_mad_u64_u32 v[9:10], s[0:1], v6, v9, 0
	v_add_co_u32_e32 v4, vcc, v11, v7
	v_addc_co_u32_e32 v4, vcc, v12, v8, vcc
	v_addc_co_u32_e32 v7, vcc, 0, v10, vcc
	v_add_co_u32_e32 v4, vcc, v4, v9
	v_addc_co_u32_e32 v9, vcc, 0, v7, vcc
	v_mul_lo_u32 v10, s19, v4
	v_mul_lo_u32 v11, s18, v9
	v_mad_u64_u32 v[7:8], s[0:1], s18, v4, 0
	v_add3_u32 v8, v8, v11, v10
	v_sub_u32_e32 v10, v6, v8
	v_mov_b32_e32 v11, s19
	v_sub_co_u32_e32 v7, vcc, v5, v7
	v_subb_co_u32_e64 v10, s[0:1], v10, v11, vcc
	v_subrev_co_u32_e64 v11, s[0:1], s18, v7
	v_subbrev_co_u32_e64 v10, s[0:1], 0, v10, s[0:1]
	v_cmp_le_u32_e64 s[0:1], s19, v10
	v_cndmask_b32_e64 v12, 0, -1, s[0:1]
	v_cmp_le_u32_e64 s[0:1], s18, v11
	v_cndmask_b32_e64 v11, 0, -1, s[0:1]
	v_cmp_eq_u32_e64 s[0:1], s19, v10
	v_cndmask_b32_e64 v10, v12, v11, s[0:1]
	v_add_co_u32_e64 v11, s[0:1], 2, v4
	v_addc_co_u32_e64 v12, s[0:1], 0, v9, s[0:1]
	v_add_co_u32_e64 v13, s[0:1], 1, v4
	v_addc_co_u32_e64 v14, s[0:1], 0, v9, s[0:1]
	v_subb_co_u32_e32 v8, vcc, v6, v8, vcc
	v_cmp_ne_u32_e64 s[0:1], 0, v10
	v_cmp_le_u32_e32 vcc, s19, v8
	v_cndmask_b32_e64 v10, v14, v12, s[0:1]
	v_cndmask_b32_e64 v12, 0, -1, vcc
	v_cmp_le_u32_e32 vcc, s18, v7
	v_cndmask_b32_e64 v7, 0, -1, vcc
	v_cmp_eq_u32_e32 vcc, s19, v8
	v_cndmask_b32_e32 v7, v12, v7, vcc
	v_cmp_ne_u32_e32 vcc, 0, v7
	v_cndmask_b32_e64 v7, v13, v11, s[0:1]
	v_cndmask_b32_e32 v8, v9, v10, vcc
	v_cndmask_b32_e32 v7, v4, v7, vcc
.LBB0_4:                                ;   in Loop: Header=BB0_2 Depth=1
	s_andn2_saveexec_b64 s[0:1], s[20:21]
	s_cbranch_execz .LBB0_6
; %bb.5:                                ;   in Loop: Header=BB0_2 Depth=1
	v_cvt_f32_u32_e32 v4, s18
	s_sub_i32 s20, 0, s18
	v_rcp_iflag_f32_e32 v4, v4
	v_mul_f32_e32 v4, 0x4f7ffffe, v4
	v_cvt_u32_f32_e32 v4, v4
	v_mul_lo_u32 v7, s20, v4
	v_mul_hi_u32 v7, v4, v7
	v_add_u32_e32 v4, v4, v7
	v_mul_hi_u32 v4, v5, v4
	v_mul_lo_u32 v7, v4, s18
	v_add_u32_e32 v8, 1, v4
	v_sub_u32_e32 v7, v5, v7
	v_subrev_u32_e32 v9, s18, v7
	v_cmp_le_u32_e32 vcc, s18, v7
	v_cndmask_b32_e32 v7, v7, v9, vcc
	v_cndmask_b32_e32 v4, v4, v8, vcc
	v_add_u32_e32 v8, 1, v4
	v_cmp_le_u32_e32 vcc, s18, v7
	v_cndmask_b32_e32 v7, v4, v8, vcc
	v_mov_b32_e32 v8, v3
.LBB0_6:                                ;   in Loop: Header=BB0_2 Depth=1
	s_or_b64 exec, exec, s[0:1]
	v_mul_lo_u32 v4, v8, s18
	v_mul_lo_u32 v11, v7, s19
	v_mad_u64_u32 v[9:10], s[0:1], v7, s18, 0
	s_load_dwordx2 s[0:1], s[6:7], 0x0
	s_add_u32 s16, s16, 1
	v_add3_u32 v4, v10, v11, v4
	v_sub_co_u32_e32 v5, vcc, v5, v9
	v_subb_co_u32_e32 v4, vcc, v6, v4, vcc
	s_waitcnt lgkmcnt(0)
	v_mul_lo_u32 v4, s0, v4
	v_mul_lo_u32 v6, s1, v5
	v_mad_u64_u32 v[1:2], s[0:1], s0, v5, v[1:2]
	s_addc_u32 s17, s17, 0
	s_add_u32 s6, s6, 8
	v_add3_u32 v2, v6, v2, v4
	v_mov_b32_e32 v4, s10
	v_mov_b32_e32 v5, s11
	s_addc_u32 s7, s7, 0
	v_cmp_ge_u64_e32 vcc, s[16:17], v[4:5]
	s_add_u32 s14, s14, 8
	s_addc_u32 s15, s15, 0
	s_cbranch_vccnz .LBB0_9
; %bb.7:                                ;   in Loop: Header=BB0_2 Depth=1
	v_mov_b32_e32 v5, v7
	v_mov_b32_e32 v6, v8
	s_branch .LBB0_2
.LBB0_8:
	v_mov_b32_e32 v8, v6
	v_mov_b32_e32 v7, v5
.LBB0_9:
	s_lshl_b64 s[0:1], s[10:11], 3
	s_add_u32 s0, s2, s0
	s_addc_u32 s1, s3, s1
	s_load_dwordx2 s[2:3], s[0:1], 0x0
	s_load_dwordx2 s[6:7], s[4:5], 0x20
	s_waitcnt lgkmcnt(0)
	v_mad_u64_u32 v[1:2], s[0:1], s2, v7, v[1:2]
	v_mul_lo_u32 v3, s2, v8
	v_mul_lo_u32 v4, s3, v7
	s_mov_b32 s0, 0x2828283
	v_mul_hi_u32 v5, v0, s0
	v_cmp_gt_u64_e64 s[0:1], s[6:7], v[7:8]
	v_add3_u32 v2, v4, v2, v3
	v_lshlrev_b64 v[74:75], 4, v[1:2]
	v_mul_u32_u24_e32 v3, 0x66, v5
	v_sub_u32_e32 v72, v0, v3
	s_and_saveexec_b64 s[2:3], s[0:1]
	s_cbranch_execz .LBB0_13
; %bb.10:
	v_mov_b32_e32 v73, 0
	v_mov_b32_e32 v0, s13
	v_add_co_u32_e32 v1, vcc, s12, v74
	v_lshlrev_b64 v[2:3], 4, v[72:73]
	v_addc_co_u32_e32 v0, vcc, v0, v75, vcc
	v_add_co_u32_e32 v65, vcc, v1, v2
	v_addc_co_u32_e32 v66, vcc, v0, v3, vcc
	s_movk_i32 s4, 0x1000
	v_add_co_u32_e32 v34, vcc, s4, v65
	v_addc_co_u32_e32 v35, vcc, 0, v66, vcc
	s_movk_i32 s4, 0x2000
	;; [unrolled: 3-line block ×5, first 2 shown]
	v_add_co_u32_e32 v69, vcc, s4, v65
	v_addc_co_u32_e32 v70, vcc, 0, v66, vcc
	global_load_dwordx4 v[2:5], v[65:66], off
	global_load_dwordx4 v[6:9], v[65:66], off offset:1632
	global_load_dwordx4 v[10:13], v[65:66], off offset:3264
	;; [unrolled: 1-line block ×7, first 2 shown]
	s_nop 0
	global_load_dwordx4 v[34:37], v[50:51], off offset:768
	global_load_dwordx4 v[38:41], v[50:51], off offset:2400
	;; [unrolled: 1-line block ×4, first 2 shown]
	v_add_co_u32_e32 v76, vcc, 0x6000, v65
	global_load_dwordx4 v[50:53], v[67:68], off offset:3200
	global_load_dwordx4 v[54:57], v[69:70], off offset:736
	;; [unrolled: 1-line block ×4, first 2 shown]
	v_addc_co_u32_e32 v77, vcc, 0, v66, vcc
	global_load_dwordx4 v[66:69], v[76:77], off offset:1536
	s_movk_i32 s4, 0x65
	v_lshl_add_u32 v70, v72, 4, 0
	v_cmp_eq_u32_e32 vcc, s4, v72
	s_waitcnt vmcnt(16)
	ds_write_b128 v70, v[2:5]
	s_waitcnt vmcnt(15)
	ds_write_b128 v70, v[6:9] offset:1632
	s_waitcnt vmcnt(14)
	ds_write_b128 v70, v[10:13] offset:3264
	;; [unrolled: 2-line block ×16, first 2 shown]
	s_and_saveexec_b64 s[4:5], vcc
	s_cbranch_execz .LBB0_12
; %bb.11:
	v_add_co_u32_e32 v1, vcc, 0x6000, v1
	v_addc_co_u32_e32 v2, vcc, 0, v0, vcc
	global_load_dwordx4 v[0:3], v[1:2], off offset:3168
	v_mov_b32_e32 v72, 0x65
	s_waitcnt vmcnt(0)
	ds_write_b128 v73, v[0:3] offset:27744
.LBB0_12:
	s_or_b64 exec, exec, s[4:5]
.LBB0_13:
	s_or_b64 exec, exec, s[2:3]
	v_lshlrev_b32_e32 v0, 4, v72
	v_add_u32_e32 v136, 0, v0
	s_waitcnt lgkmcnt(0)
	s_barrier
	v_sub_u32_e32 v10, 0, v0
	ds_read_b64 v[6:7], v136
	ds_read_b64 v[8:9], v10 offset:27744
	s_add_u32 s4, s8, 0x6b50
	s_addc_u32 s5, s9, 0
	v_cmp_ne_u32_e32 vcc, 0, v72
                                        ; implicit-def: $vgpr4_vgpr5
	s_waitcnt lgkmcnt(0)
	v_add_f64 v[0:1], v[6:7], v[8:9]
	v_add_f64 v[2:3], v[6:7], -v[8:9]
	s_and_saveexec_b64 s[2:3], vcc
	s_xor_b64 s[2:3], exec, s[2:3]
	s_cbranch_execz .LBB0_15
; %bb.14:
	v_mov_b32_e32 v73, 0
	v_lshlrev_b64 v[0:1], 4, v[72:73]
	v_mov_b32_e32 v2, s5
	v_add_co_u32_e32 v0, vcc, s4, v0
	v_addc_co_u32_e32 v1, vcc, v2, v1, vcc
	global_load_dwordx4 v[2:5], v[0:1], off
	ds_read_b64 v[0:1], v10 offset:27752
	ds_read_b64 v[11:12], v136 offset:8
	v_add_f64 v[13:14], v[6:7], v[8:9]
	v_add_f64 v[8:9], v[6:7], -v[8:9]
	s_waitcnt lgkmcnt(0)
	v_add_f64 v[15:16], v[0:1], v[11:12]
	v_add_f64 v[0:1], v[11:12], -v[0:1]
	s_waitcnt vmcnt(0)
	v_fma_f64 v[6:7], -v[8:9], v[4:5], v[13:14]
	v_fma_f64 v[11:12], v[15:16], v[4:5], -v[0:1]
	v_fma_f64 v[13:14], v[8:9], v[4:5], v[13:14]
	v_fma_f64 v[17:18], v[15:16], v[4:5], v[0:1]
	;; [unrolled: 1-line block ×4, first 2 shown]
	v_fma_f64 v[0:1], -v[15:16], v[2:3], v[13:14]
	v_fma_f64 v[2:3], v[8:9], v[2:3], v[17:18]
	ds_write_b128 v10, v[4:7] offset:27744
	v_mov_b32_e32 v4, v72
	v_mov_b32_e32 v5, v73
.LBB0_15:
	s_andn2_saveexec_b64 s[2:3], s[2:3]
	s_cbranch_execz .LBB0_17
; %bb.16:
	v_mov_b32_e32 v8, 0
	ds_read_b128 v[4:7], v8 offset:13872
	s_waitcnt lgkmcnt(0)
	v_add_f64 v[11:12], v[4:5], v[4:5]
	v_mul_f64 v[13:14], v[6:7], -2.0
	v_mov_b32_e32 v4, 0
	v_mov_b32_e32 v5, 0
	ds_write_b128 v8, v[11:14] offset:13872
.LBB0_17:
	s_or_b64 exec, exec, s[2:3]
	v_lshlrev_b64 v[4:5], 4, v[4:5]
	v_mov_b32_e32 v6, s5
	v_add_co_u32_e32 v4, vcc, s4, v4
	v_addc_co_u32_e32 v5, vcc, v6, v5, vcc
	global_load_dwordx4 v[6:9], v[4:5], off offset:1632
	global_load_dwordx4 v[11:14], v[4:5], off offset:3264
	s_movk_i32 s2, 0x1000
	v_add_co_u32_e32 v23, vcc, s2, v4
	ds_write_b128 v136, v[0:3]
	v_addc_co_u32_e32 v24, vcc, 0, v5, vcc
	ds_read_b128 v[0:3], v136 offset:1632
	ds_read_b128 v[15:18], v10 offset:26112
	global_load_dwordx4 v[19:22], v[23:24], off offset:800
	s_movk_i32 s2, 0x2000
	s_waitcnt lgkmcnt(0)
	v_add_f64 v[25:26], v[0:1], v[15:16]
	v_add_f64 v[27:28], v[17:18], v[2:3]
	v_add_f64 v[29:30], v[0:1], -v[15:16]
	v_add_f64 v[0:1], v[2:3], -v[17:18]
	s_waitcnt vmcnt(2)
	v_fma_f64 v[2:3], v[29:30], v[8:9], v[25:26]
	v_fma_f64 v[15:16], v[27:28], v[8:9], v[0:1]
	v_fma_f64 v[17:18], -v[29:30], v[8:9], v[25:26]
	v_fma_f64 v[8:9], v[27:28], v[8:9], -v[0:1]
	v_fma_f64 v[0:1], -v[27:28], v[6:7], v[2:3]
	v_fma_f64 v[2:3], v[29:30], v[6:7], v[15:16]
	v_fma_f64 v[15:16], v[27:28], v[6:7], v[17:18]
	v_fma_f64 v[17:18], v[29:30], v[6:7], v[8:9]
	ds_write_b128 v136, v[0:3] offset:1632
	ds_write_b128 v10, v[15:18] offset:26112
	ds_read_b128 v[0:3], v136 offset:3264
	ds_read_b128 v[6:9], v10 offset:24480
	global_load_dwordx4 v[15:18], v[23:24], off offset:2432
	s_waitcnt lgkmcnt(0)
	v_add_f64 v[25:26], v[0:1], v[6:7]
	v_add_f64 v[27:28], v[8:9], v[2:3]
	v_add_f64 v[29:30], v[0:1], -v[6:7]
	v_add_f64 v[0:1], v[2:3], -v[8:9]
	s_waitcnt vmcnt(2)
	v_fma_f64 v[2:3], v[29:30], v[13:14], v[25:26]
	v_fma_f64 v[6:7], v[27:28], v[13:14], v[0:1]
	v_fma_f64 v[8:9], -v[29:30], v[13:14], v[25:26]
	v_fma_f64 v[13:14], v[27:28], v[13:14], -v[0:1]
	v_fma_f64 v[0:1], -v[27:28], v[11:12], v[2:3]
	v_fma_f64 v[2:3], v[29:30], v[11:12], v[6:7]
	v_fma_f64 v[6:7], v[27:28], v[11:12], v[8:9]
	;; [unrolled: 1-line block ×3, first 2 shown]
	ds_write_b128 v136, v[0:3] offset:3264
	ds_write_b128 v10, v[6:9] offset:24480
	ds_read_b128 v[0:3], v136 offset:4896
	ds_read_b128 v[6:9], v10 offset:22848
	global_load_dwordx4 v[11:14], v[23:24], off offset:4064
	s_waitcnt lgkmcnt(0)
	v_add_f64 v[23:24], v[0:1], v[6:7]
	v_add_f64 v[25:26], v[8:9], v[2:3]
	v_add_f64 v[27:28], v[0:1], -v[6:7]
	v_add_f64 v[0:1], v[2:3], -v[8:9]
	s_waitcnt vmcnt(2)
	v_fma_f64 v[2:3], v[27:28], v[21:22], v[23:24]
	v_fma_f64 v[6:7], v[25:26], v[21:22], v[0:1]
	v_fma_f64 v[8:9], -v[27:28], v[21:22], v[23:24]
	v_fma_f64 v[21:22], v[25:26], v[21:22], -v[0:1]
	v_add_co_u32_e32 v23, vcc, s2, v4
	v_addc_co_u32_e32 v24, vcc, 0, v5, vcc
	v_fma_f64 v[0:1], -v[25:26], v[19:20], v[2:3]
	v_fma_f64 v[2:3], v[27:28], v[19:20], v[6:7]
	v_fma_f64 v[6:7], v[25:26], v[19:20], v[8:9]
	;; [unrolled: 1-line block ×3, first 2 shown]
	ds_write_b128 v136, v[0:3] offset:4896
	ds_write_b128 v10, v[6:9] offset:22848
	ds_read_b128 v[0:3], v136 offset:6528
	ds_read_b128 v[6:9], v10 offset:21216
	global_load_dwordx4 v[19:22], v[23:24], off offset:1600
	v_cmp_gt_u32_e32 vcc, 51, v72
	s_waitcnt lgkmcnt(0)
	v_add_f64 v[25:26], v[0:1], v[6:7]
	v_add_f64 v[27:28], v[8:9], v[2:3]
	v_add_f64 v[29:30], v[0:1], -v[6:7]
	v_add_f64 v[0:1], v[2:3], -v[8:9]
	s_waitcnt vmcnt(2)
	v_fma_f64 v[2:3], v[29:30], v[17:18], v[25:26]
	v_fma_f64 v[6:7], v[27:28], v[17:18], v[0:1]
	v_fma_f64 v[8:9], -v[29:30], v[17:18], v[25:26]
	v_fma_f64 v[17:18], v[27:28], v[17:18], -v[0:1]
	v_fma_f64 v[0:1], -v[27:28], v[15:16], v[2:3]
	v_fma_f64 v[2:3], v[29:30], v[15:16], v[6:7]
	v_fma_f64 v[6:7], v[27:28], v[15:16], v[8:9]
	v_fma_f64 v[8:9], v[29:30], v[15:16], v[17:18]
	ds_write_b128 v136, v[0:3] offset:6528
	ds_write_b128 v10, v[6:9] offset:21216
	ds_read_b128 v[0:3], v136 offset:8160
	ds_read_b128 v[6:9], v10 offset:19584
	global_load_dwordx4 v[15:18], v[23:24], off offset:3232
	s_waitcnt lgkmcnt(0)
	v_add_f64 v[23:24], v[0:1], v[6:7]
	v_add_f64 v[25:26], v[8:9], v[2:3]
	v_add_f64 v[27:28], v[0:1], -v[6:7]
	v_add_f64 v[0:1], v[2:3], -v[8:9]
	s_waitcnt vmcnt(2)
	v_fma_f64 v[2:3], v[27:28], v[13:14], v[23:24]
	v_fma_f64 v[6:7], v[25:26], v[13:14], v[0:1]
	v_fma_f64 v[8:9], -v[27:28], v[13:14], v[23:24]
	v_fma_f64 v[13:14], v[25:26], v[13:14], -v[0:1]
	v_fma_f64 v[0:1], -v[25:26], v[11:12], v[2:3]
	v_fma_f64 v[2:3], v[27:28], v[11:12], v[6:7]
	v_fma_f64 v[6:7], v[25:26], v[11:12], v[8:9]
	;; [unrolled: 1-line block ×3, first 2 shown]
	ds_write_b128 v136, v[0:3] offset:8160
	ds_write_b128 v10, v[6:9] offset:19584
	ds_read_b128 v[0:3], v136 offset:9792
	ds_read_b128 v[6:9], v10 offset:17952
	s_waitcnt lgkmcnt(0)
	v_add_f64 v[11:12], v[0:1], v[6:7]
	v_add_f64 v[13:14], v[8:9], v[2:3]
	v_add_f64 v[23:24], v[0:1], -v[6:7]
	v_add_f64 v[0:1], v[2:3], -v[8:9]
	s_waitcnt vmcnt(1)
	v_fma_f64 v[2:3], v[23:24], v[21:22], v[11:12]
	v_fma_f64 v[6:7], v[13:14], v[21:22], v[0:1]
	v_fma_f64 v[8:9], -v[23:24], v[21:22], v[11:12]
	v_fma_f64 v[11:12], v[13:14], v[21:22], -v[0:1]
	v_fma_f64 v[0:1], -v[13:14], v[19:20], v[2:3]
	v_fma_f64 v[2:3], v[23:24], v[19:20], v[6:7]
	v_fma_f64 v[6:7], v[13:14], v[19:20], v[8:9]
	;; [unrolled: 1-line block ×3, first 2 shown]
	ds_write_b128 v136, v[0:3] offset:9792
	ds_write_b128 v10, v[6:9] offset:17952
	ds_read_b128 v[0:3], v136 offset:11424
	ds_read_b128 v[6:9], v10 offset:16320
	s_waitcnt lgkmcnt(0)
	v_add_f64 v[11:12], v[0:1], v[6:7]
	v_add_f64 v[13:14], v[8:9], v[2:3]
	v_add_f64 v[19:20], v[0:1], -v[6:7]
	v_add_f64 v[0:1], v[2:3], -v[8:9]
	s_waitcnt vmcnt(0)
	v_fma_f64 v[2:3], v[19:20], v[17:18], v[11:12]
	v_fma_f64 v[6:7], v[13:14], v[17:18], v[0:1]
	v_fma_f64 v[8:9], -v[19:20], v[17:18], v[11:12]
	v_fma_f64 v[11:12], v[13:14], v[17:18], -v[0:1]
	v_fma_f64 v[0:1], -v[13:14], v[15:16], v[2:3]
	v_fma_f64 v[2:3], v[19:20], v[15:16], v[6:7]
	v_fma_f64 v[6:7], v[13:14], v[15:16], v[8:9]
	;; [unrolled: 1-line block ×3, first 2 shown]
	ds_write_b128 v136, v[0:3] offset:11424
	ds_write_b128 v10, v[6:9] offset:16320
	s_and_saveexec_b64 s[2:3], vcc
	s_cbranch_execz .LBB0_19
; %bb.18:
	s_movk_i32 s4, 0x3000
	v_add_co_u32_e32 v0, vcc, s4, v4
	v_addc_co_u32_e32 v1, vcc, 0, v5, vcc
	global_load_dwordx4 v[0:3], v[0:1], off offset:768
	ds_read_b128 v[4:7], v136 offset:13056
	ds_read_b128 v[11:14], v10 offset:14688
	s_waitcnt lgkmcnt(0)
	v_add_f64 v[8:9], v[4:5], v[11:12]
	v_add_f64 v[15:16], v[13:14], v[6:7]
	v_add_f64 v[11:12], v[4:5], -v[11:12]
	v_add_f64 v[4:5], v[6:7], -v[13:14]
	s_waitcnt vmcnt(0)
	v_fma_f64 v[6:7], v[11:12], v[2:3], v[8:9]
	v_fma_f64 v[13:14], v[15:16], v[2:3], v[4:5]
	v_fma_f64 v[8:9], -v[11:12], v[2:3], v[8:9]
	v_fma_f64 v[17:18], v[15:16], v[2:3], -v[4:5]
	v_fma_f64 v[2:3], -v[15:16], v[0:1], v[6:7]
	v_fma_f64 v[4:5], v[11:12], v[0:1], v[13:14]
	v_fma_f64 v[6:7], v[15:16], v[0:1], v[8:9]
	;; [unrolled: 1-line block ×3, first 2 shown]
	ds_write_b128 v136, v[2:5] offset:13056
	ds_write_b128 v10, v[6:9] offset:14688
.LBB0_19:
	s_or_b64 exec, exec, s[2:3]
	s_waitcnt lgkmcnt(0)
	s_barrier
	s_barrier
	ds_read_b128 v[0:3], v136
	ds_read_b128 v[4:7], v136 offset:1632
	ds_read_b128 v[8:11], v136 offset:3264
	;; [unrolled: 1-line block ×3, first 2 shown]
	s_mov_b32 s26, 0x5d8e7cdc
	s_mov_b32 s27, 0xbfd71e95
	;; [unrolled: 1-line block ×3, first 2 shown]
	s_waitcnt lgkmcnt(2)
	v_add_f64 v[16:17], v[0:1], v[4:5]
	v_add_f64 v[18:19], v[2:3], v[6:7]
	s_mov_b32 s36, 0x2a9d6da3
	s_mov_b32 s10, 0x923c349f
	;; [unrolled: 1-line block ×6, first 2 shown]
	s_waitcnt lgkmcnt(1)
	v_add_f64 v[32:33], v[16:17], v[8:9]
	v_add_f64 v[34:35], v[18:19], v[10:11]
	ds_read_b128 v[16:19], v136 offset:6528
	ds_read_b128 v[20:23], v136 offset:8160
	;; [unrolled: 1-line block ×4, first 2 shown]
	s_mov_b32 s40, 0x7c9e640b
	s_mov_b32 s30, 0xeb564b22
	;; [unrolled: 1-line block ×5, first 2 shown]
	s_waitcnt lgkmcnt(4)
	v_add_f64 v[40:41], v[32:33], v[12:13]
	v_add_f64 v[42:43], v[34:35], v[14:15]
	ds_read_b128 v[36:39], v136 offset:13056
	ds_read_b128 v[32:35], v136 offset:14688
	;; [unrolled: 1-line block ×6, first 2 shown]
	s_waitcnt lgkmcnt(4)
	v_add_f64 v[44:45], v[36:37], -v[32:33]
	v_add_f64 v[46:47], v[38:39], -v[34:35]
	s_waitcnt lgkmcnt(3)
	v_add_f64 v[52:53], v[28:29], -v[56:57]
	s_waitcnt lgkmcnt(2)
	v_add_f64 v[60:61], v[24:25], -v[76:77]
	v_add_f64 v[54:55], v[30:31], -v[58:59]
	v_add_f64 v[40:41], v[40:41], v[16:17]
	v_add_f64 v[42:43], v[42:43], v[18:19]
	s_waitcnt lgkmcnt(1)
	v_add_f64 v[68:69], v[20:21], -v[84:85]
	v_add_f64 v[70:71], v[22:23], -v[86:87]
	ds_read_b128 v[100:103], v136 offset:22848
	ds_read_b128 v[104:107], v136 offset:24480
	;; [unrolled: 1-line block ×3, first 2 shown]
	v_add_f64 v[62:63], v[26:27], -v[78:79]
	s_waitcnt lgkmcnt(3)
	v_add_f64 v[64:65], v[16:17], v[96:97]
	s_waitcnt lgkmcnt(2)
	v_add_f64 v[80:81], v[12:13], v[100:101]
	v_add_f64 v[40:41], v[40:41], v[20:21]
	;; [unrolled: 1-line block ×3, first 2 shown]
	v_add_f64 v[88:89], v[12:13], -v[100:101]
	v_add_f64 v[90:91], v[14:15], -v[102:103]
	s_waitcnt lgkmcnt(1)
	v_add_f64 v[92:93], v[8:9], -v[104:105]
	v_add_f64 v[94:95], v[10:11], -v[106:107]
	v_add_f64 v[66:67], v[18:19], v[98:99]
	v_add_f64 v[82:83], v[18:19], -v[98:99]
	v_add_f64 v[40:41], v[40:41], v[24:25]
	v_add_f64 v[42:43], v[42:43], v[26:27]
	s_waitcnt lgkmcnt(0)
	v_add_f64 v[18:19], v[4:5], -v[108:109]
	s_mov_b32 s34, 0xacd6c6b4
	s_mov_b32 s15, 0x3fe7a5f6
	s_mov_b32 s41, 0xbfeca52d
	s_mov_b32 s31, 0xbfefdd0d
	s_mov_b32 s5, 0xbfd183b1
	v_add_f64 v[40:41], v[40:41], v[28:29]
	v_add_f64 v[42:43], v[42:43], v[30:31]
	s_mov_b32 s19, 0xbfe9895b
	s_mov_b32 s25, 0xbfe0d888
	;; [unrolled: 1-line block ×6, first 2 shown]
	v_add_f64 v[48:49], v[40:41], v[36:37]
	v_add_f64 v[50:51], v[42:43], v[38:39]
	;; [unrolled: 1-line block ×6, first 2 shown]
	s_mov_b32 s22, 0x910ea3b9
	s_mov_b32 s28, 0x7faef3
	v_add_f64 v[32:33], v[48:49], v[32:33]
	v_add_f64 v[34:35], v[50:51], v[34:35]
	;; [unrolled: 1-line block ×4, first 2 shown]
	s_mov_b32 s7, 0x3fdc86fa
	s_mov_b32 s3, 0x3fb79ee6
	;; [unrolled: 1-line block ×4, first 2 shown]
	v_add_f64 v[24:25], v[32:33], v[56:57]
	v_add_f64 v[28:29], v[34:35], v[58:59]
	;; [unrolled: 1-line block ×4, first 2 shown]
	s_mov_b32 s29, 0xbfef7484
	v_mul_f64 v[112:113], v[18:19], s[30:31]
	v_mul_f64 v[114:115], v[18:19], s[10:11]
	v_mul_f64 v[118:119], v[18:19], s[18:19]
	v_add_f64 v[20:21], v[24:25], v[76:77]
	v_add_f64 v[22:23], v[28:29], v[78:79]
	v_add_f64 v[78:79], v[16:17], -v[96:97]
	v_add_f64 v[76:77], v[14:15], v[102:103]
	v_add_f64 v[14:15], v[6:7], -v[110:111]
	v_mul_f64 v[120:121], v[18:19], s[24:25]
	v_mul_f64 v[147:148], v[94:95], s[36:37]
	v_mul_f64 v[149:150], v[92:93], s[36:37]
	v_add_f64 v[12:13], v[20:21], v[84:85]
	v_add_f64 v[16:17], v[22:23], v[86:87]
	;; [unrolled: 1-line block ×4, first 2 shown]
	v_mul_f64 v[24:25], v[14:15], s[10:11]
	v_mul_f64 v[20:21], v[14:15], s[40:41]
	;; [unrolled: 1-line block ×4, first 2 shown]
	v_add_f64 v[8:9], v[12:13], v[96:97]
	v_add_f64 v[10:11], v[16:17], v[98:99]
	;; [unrolled: 1-line block ×3, first 2 shown]
	v_mul_f64 v[4:5], v[14:15], s[26:27]
	v_add_f64 v[16:17], v[6:7], v[110:111]
	v_mul_f64 v[6:7], v[14:15], s[36:37]
	v_mul_f64 v[159:160], v[90:91], s[40:41]
	;; [unrolled: 1-line block ×3, first 2 shown]
	v_add_f64 v[8:9], v[8:9], v[100:101]
	v_add_f64 v[10:11], v[10:11], v[102:103]
	v_fma_f64 v[98:99], v[12:13], s[4:5], -v[24:25]
	v_fma_f64 v[28:29], v[12:13], s[20:21], -v[4:5]
	v_fma_f64 v[30:31], v[12:13], s[20:21], v[4:5]
	v_fma_f64 v[32:33], v[12:13], s[14:15], -v[6:7]
	v_fma_f64 v[34:35], v[12:13], s[6:7], -v[20:21]
	v_fma_f64 v[20:21], v[12:13], s[6:7], v[20:21]
	v_add_f64 v[4:5], v[8:9], v[104:105]
	v_add_f64 v[8:9], v[10:11], v[106:107]
	v_fma_f64 v[10:11], v[12:13], s[14:15], v[6:7]
	v_mul_f64 v[104:105], v[18:19], s[26:27]
	v_fma_f64 v[96:97], v[12:13], s[2:3], -v[22:23]
	v_fma_f64 v[22:23], v[12:13], s[2:3], v[22:23]
	v_fma_f64 v[100:101], v[12:13], s[16:17], -v[26:27]
	v_fma_f64 v[26:27], v[12:13], s[16:17], v[26:27]
	v_add_f64 v[4:5], v[4:5], v[108:109]
	v_add_f64 v[6:7], v[8:9], v[110:111]
	v_fma_f64 v[8:9], v[12:13], s[4:5], v[24:25]
	v_mul_f64 v[24:25], v[14:15], s[24:25]
	v_mul_f64 v[14:15], v[14:15], s[34:35]
	;; [unrolled: 1-line block ×5, first 2 shown]
	v_fma_f64 v[122:123], v[16:17], s[2:3], v[112:113]
	v_fma_f64 v[112:113], v[16:17], s[2:3], -v[112:113]
	v_fma_f64 v[126:127], v[16:17], s[4:5], v[114:115]
	v_fma_f64 v[102:103], v[12:13], s[22:23], -v[24:25]
	v_fma_f64 v[24:25], v[12:13], s[22:23], v[24:25]
	v_fma_f64 v[124:125], v[12:13], s[28:29], -v[14:15]
	v_fma_f64 v[12:13], v[12:13], s[28:29], v[14:15]
	v_fma_f64 v[14:15], v[16:17], s[20:21], v[104:105]
	v_fma_f64 v[104:105], v[16:17], s[20:21], -v[104:105]
	v_fma_f64 v[110:111], v[16:17], s[14:15], v[106:107]
	v_fma_f64 v[106:107], v[16:17], s[14:15], -v[106:107]
	;; [unrolled: 2-line block ×3, first 2 shown]
	v_fma_f64 v[114:115], v[16:17], s[4:5], -v[114:115]
	v_fma_f64 v[128:129], v[16:17], s[16:17], v[118:119]
	v_fma_f64 v[130:131], v[16:17], s[16:17], -v[118:119]
	v_fma_f64 v[132:133], v[16:17], s[22:23], v[120:121]
	;; [unrolled: 2-line block ×3, first 2 shown]
	v_fma_f64 v[16:17], v[16:17], s[28:29], -v[18:19]
	v_add_f64 v[18:19], v[0:1], v[28:29]
	v_add_f64 v[14:15], v[2:3], v[14:15]
	;; [unrolled: 1-line block ×4, first 2 shown]
	v_fma_f64 v[96:97], v[86:87], s[14:15], -v[147:148]
	v_fma_f64 v[104:105], v[84:85], s[14:15], v[149:150]
	v_add_f64 v[163:164], v[0:1], v[22:23]
	v_add_f64 v[28:29], v[2:3], v[126:127]
	v_fma_f64 v[22:23], v[80:81], s[6:7], -v[159:160]
	v_mul_f64 v[126:127], v[82:83], s[30:31]
	v_mul_f64 v[167:168], v[78:79], s[30:31]
	v_add_f64 v[151:152], v[2:3], v[116:117]
	v_add_f64 v[18:19], v[96:97], v[18:19]
	v_add_f64 v[14:15], v[104:105], v[14:15]
	v_fma_f64 v[96:97], v[76:77], s[6:7], v[161:162]
	v_add_f64 v[157:158], v[2:3], v[122:123]
	v_add_f64 v[122:123], v[0:1], v[8:9]
	;; [unrolled: 1-line block ×3, first 2 shown]
	v_mul_f64 v[128:129], v[70:71], s[10:11]
	v_mul_f64 v[169:170], v[68:69], s[10:11]
	v_add_f64 v[8:9], v[22:23], v[18:19]
	v_fma_f64 v[18:19], v[64:65], s[2:3], -v[126:127]
	v_add_f64 v[14:15], v[96:97], v[14:15]
	v_fma_f64 v[22:23], v[66:67], s[2:3], v[167:168]
	v_add_f64 v[165:166], v[2:3], v[112:113]
	v_add_f64 v[120:121], v[2:3], v[114:115]
	;; [unrolled: 1-line block ×4, first 2 shown]
	v_mul_f64 v[26:27], v[62:63], s[18:19]
	v_add_f64 v[8:9], v[18:19], v[8:9]
	v_fma_f64 v[18:19], v[56:57], s[4:5], -v[128:129]
	v_add_f64 v[14:15], v[22:23], v[14:15]
	v_fma_f64 v[22:23], v[58:59], s[4:5], v[169:170]
	v_mul_f64 v[130:131], v[60:61], s[18:19]
	v_add_f64 v[143:144], v[2:3], v[110:111]
	v_add_f64 v[145:146], v[2:3], v[106:107]
	;; [unrolled: 1-line block ×7, first 2 shown]
	v_fma_f64 v[18:19], v[48:49], s[16:17], -v[26:27]
	v_fma_f64 v[22:23], v[50:51], s[16:17], v[130:131]
	v_mul_f64 v[24:25], v[54:55], s[24:25]
	v_mul_f64 v[124:125], v[52:53], s[24:25]
	v_add_f64 v[139:140], v[0:1], v[30:31]
	v_add_f64 v[32:33], v[0:1], v[32:33]
	v_add_f64 v[10:11], v[0:1], v[10:11]
	v_add_f64 v[34:35], v[0:1], v[34:35]
	v_add_f64 v[20:21], v[0:1], v[20:21]
	v_add_f64 v[153:154], v[2:3], v[108:109]
	v_add_f64 v[30:31], v[0:1], v[98:99]
	v_add_f64 v[118:119], v[0:1], v[100:101]
	v_add_f64 v[108:109], v[2:3], v[132:133]
	v_add_f64 v[104:105], v[2:3], v[134:135]
	v_add_f64 v[96:97], v[2:3], v[137:138]
	v_add_f64 v[100:101], v[0:1], v[12:13]
	v_add_f64 v[98:99], v[2:3], v[16:17]
	v_fma_f64 v[0:1], v[86:87], s[14:15], v[147:148]
	v_fma_f64 v[2:3], v[84:85], s[14:15], -v[149:150]
	v_add_f64 v[8:9], v[18:19], v[8:9]
	v_add_f64 v[12:13], v[22:23], v[14:15]
	v_fma_f64 v[14:15], v[36:37], s[22:23], -v[24:25]
	v_fma_f64 v[16:17], v[38:39], s[22:23], v[124:125]
	v_mul_f64 v[18:19], v[46:47], s[34:35]
	v_mul_f64 v[22:23], v[44:45], s[34:35]
	v_add_f64 v[0:1], v[0:1], v[139:140]
	v_add_f64 v[2:3], v[2:3], v[141:142]
	v_fma_f64 v[132:133], v[80:81], s[6:7], v[159:160]
	v_fma_f64 v[134:135], v[76:77], s[6:7], -v[161:162]
	v_add_f64 v[8:9], v[14:15], v[8:9]
	v_add_f64 v[12:13], v[16:17], v[12:13]
	v_fma_f64 v[14:15], v[42:43], s[28:29], -v[18:19]
	v_fma_f64 v[16:17], v[40:41], s[28:29], v[22:23]
	v_mul_f64 v[137:138], v[94:95], s[30:31]
	v_mul_f64 v[139:140], v[92:93], s[30:31]
	v_add_f64 v[132:133], v[132:133], v[0:1]
	v_add_f64 v[134:135], v[134:135], v[2:3]
	;; [unrolled: 10-line block ×3, first 2 shown]
	v_fma_f64 v[128:129], v[56:57], s[4:5], v[128:129]
	v_fma_f64 v[134:135], v[58:59], s[4:5], -v[169:170]
	v_add_f64 v[8:9], v[8:9], v[32:33]
	v_add_f64 v[12:13], v[12:13], v[143:144]
	v_fma_f64 v[32:33], v[80:81], s[16:17], -v[14:15]
	v_fma_f64 v[141:142], v[76:77], s[16:17], v[16:17]
	v_mul_f64 v[143:144], v[82:83], s[34:35]
	v_mul_f64 v[147:148], v[78:79], s[34:35]
	s_mov_b32 s51, 0x3fe0d888
	s_mov_b32 s50, s24
	v_add_f64 v[126:127], v[128:129], v[126:127]
	v_add_f64 v[128:129], v[134:135], v[132:133]
	v_fma_f64 v[26:27], v[48:49], s[16:17], v[26:27]
	v_fma_f64 v[130:131], v[50:51], s[16:17], -v[130:131]
	v_add_f64 v[8:9], v[32:33], v[8:9]
	v_add_f64 v[12:13], v[141:142], v[12:13]
	v_fma_f64 v[32:33], v[64:65], s[28:29], -v[143:144]
	v_fma_f64 v[132:133], v[66:67], s[28:29], v[147:148]
	v_mul_f64 v[134:135], v[70:71], s[50:51]
	v_mul_f64 v[141:142], v[68:69], s[50:51]
	s_mov_b32 s47, 0x3feec746
	s_mov_b32 s46, s10
	v_add_f64 v[26:27], v[26:27], v[126:127]
	v_add_f64 v[126:127], v[130:131], v[128:129]
	v_fma_f64 v[24:25], v[36:37], s[22:23], v[24:25]
	v_fma_f64 v[124:125], v[38:39], s[22:23], -v[124:125]
	v_add_f64 v[8:9], v[32:33], v[8:9]
	v_add_f64 v[12:13], v[132:133], v[12:13]
	v_fma_f64 v[32:33], v[56:57], s[22:23], -v[134:135]
	v_fma_f64 v[128:129], v[58:59], s[22:23], v[141:142]
	v_mul_f64 v[130:131], v[62:63], s[46:47]
	s_mov_b32 s39, 0x3feca52d
	v_add_f64 v[24:25], v[24:25], v[26:27]
	v_add_f64 v[26:27], v[124:125], v[126:127]
	v_mul_f64 v[124:125], v[60:61], s[46:47]
	v_fma_f64 v[126:127], v[86:87], s[2:3], v[137:138]
	v_add_f64 v[8:9], v[32:33], v[8:9]
	v_add_f64 v[12:13], v[128:129], v[12:13]
	v_fma_f64 v[32:33], v[48:49], s[4:5], -v[130:131]
	v_fma_f64 v[128:129], v[84:85], s[2:3], -v[139:140]
	s_mov_b32 s38, s40
	v_fma_f64 v[22:23], v[40:41], s[28:29], -v[22:23]
	v_fma_f64 v[132:133], v[50:51], s[4:5], v[124:125]
	v_mul_f64 v[137:138], v[54:55], s[38:39]
	v_mul_f64 v[139:140], v[52:53], s[38:39]
	v_fma_f64 v[14:15], v[80:81], s[16:17], v[14:15]
	v_add_f64 v[32:33], v[32:33], v[8:9]
	v_add_f64 v[8:9], v[126:127], v[10:11]
	;; [unrolled: 1-line block ×3, first 2 shown]
	v_fma_f64 v[16:17], v[76:77], s[16:17], -v[16:17]
	v_fma_f64 v[18:19], v[42:43], s[28:29], v[18:19]
	v_add_f64 v[12:13], v[132:133], v[12:13]
	v_fma_f64 v[126:127], v[36:37], s[6:7], -v[137:138]
	v_fma_f64 v[128:129], v[38:39], s[6:7], v[139:140]
	v_fma_f64 v[143:144], v[64:65], s[28:29], v[143:144]
	v_add_f64 v[14:15], v[14:15], v[8:9]
	v_fma_f64 v[145:146], v[66:67], s[28:29], -v[147:148]
	v_add_f64 v[16:17], v[16:17], v[10:11]
	v_add_f64 v[10:11], v[22:23], v[26:27]
	v_mul_f64 v[22:23], v[94:95], s[18:19]
	s_mov_b32 s55, 0x3fc7851a
	s_mov_b32 s54, s34
	v_add_f64 v[8:9], v[18:19], v[24:25]
	v_add_f64 v[18:19], v[126:127], v[32:33]
	;; [unrolled: 1-line block ×5, first 2 shown]
	v_fma_f64 v[26:27], v[56:57], s[22:23], v[134:135]
	v_fma_f64 v[32:33], v[58:59], s[22:23], -v[141:142]
	v_fma_f64 v[128:129], v[86:87], s[16:17], -v[22:23]
	v_mul_f64 v[134:135], v[92:93], s[18:19]
	v_mul_f64 v[141:142], v[90:91], s[54:55]
	s_mov_b32 s45, 0x3fd71e95
	s_mov_b32 s44, s26
	v_mul_f64 v[132:133], v[46:47], s[44:45]
	v_mul_f64 v[126:127], v[44:45], s[44:45]
	v_add_f64 v[14:15], v[26:27], v[14:15]
	v_add_f64 v[16:17], v[32:33], v[16:17]
	v_fma_f64 v[26:27], v[48:49], s[4:5], v[130:131]
	v_fma_f64 v[32:33], v[50:51], s[4:5], -v[124:125]
	v_add_f64 v[34:35], v[128:129], v[34:35]
	v_fma_f64 v[128:129], v[84:85], s[16:17], v[134:135]
	v_fma_f64 v[130:131], v[80:81], s[28:29], -v[141:142]
	v_mul_f64 v[143:144], v[88:89], s[54:55]
	v_mul_f64 v[145:146], v[82:83], s[46:47]
	s_mov_b32 s43, 0x3fe58eea
	s_mov_b32 s42, s36
	v_fma_f64 v[24:25], v[42:43], s[20:21], -v[132:133]
	v_fma_f64 v[124:125], v[40:41], s[20:21], v[126:127]
	v_add_f64 v[14:15], v[26:27], v[14:15]
	v_add_f64 v[26:27], v[32:33], v[16:17]
	v_fma_f64 v[32:33], v[36:37], s[6:7], v[137:138]
	v_fma_f64 v[137:138], v[38:39], s[6:7], -v[139:140]
	v_add_f64 v[128:129], v[128:129], v[151:152]
	v_add_f64 v[34:35], v[130:131], v[34:35]
	v_fma_f64 v[130:131], v[76:77], s[28:29], v[143:144]
	v_fma_f64 v[139:140], v[64:65], s[4:5], -v[145:146]
	v_mul_f64 v[149:150], v[70:71], s[42:43]
	v_add_f64 v[16:17], v[24:25], v[18:19]
	v_add_f64 v[18:19], v[124:125], v[12:13]
	;; [unrolled: 1-line block ×4, first 2 shown]
	v_mul_f64 v[147:148], v[78:79], s[46:47]
	v_add_f64 v[24:25], v[130:131], v[128:129]
	v_add_f64 v[26:27], v[139:140], v[34:35]
	v_fma_f64 v[34:35], v[56:57], s[14:15], -v[149:150]
	v_mul_f64 v[128:129], v[62:63], s[26:27]
	v_fma_f64 v[130:131], v[42:43], s[20:21], v[132:133]
	v_fma_f64 v[22:23], v[86:87], s[16:17], v[22:23]
	v_fma_f64 v[132:133], v[84:85], s[16:17], -v[134:135]
	v_mul_f64 v[137:138], v[54:55], s[30:31]
	v_fma_f64 v[32:33], v[66:67], s[4:5], v[147:148]
	v_mul_f64 v[124:125], v[68:69], s[42:43]
	v_add_f64 v[26:27], v[34:35], v[26:27]
	v_fma_f64 v[34:35], v[48:49], s[20:21], -v[128:129]
	v_fma_f64 v[139:140], v[76:77], s[28:29], -v[143:144]
	v_add_f64 v[20:21], v[22:23], v[20:21]
	v_add_f64 v[22:23], v[132:133], v[153:154]
	;; [unrolled: 1-line block ×3, first 2 shown]
	v_fma_f64 v[130:131], v[36:37], s[2:3], -v[137:138]
	v_add_f64 v[24:25], v[32:33], v[24:25]
	v_fma_f64 v[32:33], v[58:59], s[14:15], v[124:125]
	v_add_f64 v[26:27], v[34:35], v[26:27]
	v_mul_f64 v[134:135], v[60:61], s[26:27]
	v_fma_f64 v[132:133], v[80:81], s[28:29], v[141:142]
	v_add_f64 v[22:23], v[139:140], v[22:23]
	v_fma_f64 v[139:140], v[66:67], s[4:5], -v[147:148]
	v_fma_f64 v[126:127], v[40:41], s[20:21], -v[126:127]
	v_mul_f64 v[34:35], v[52:53], s[30:31]
	v_add_f64 v[24:25], v[32:33], v[24:25]
	v_add_f64 v[26:27], v[130:131], v[26:27]
	v_mul_f64 v[130:131], v[94:95], s[34:35]
	v_fma_f64 v[32:33], v[50:51], s[20:21], v[134:135]
	v_add_f64 v[20:21], v[132:133], v[20:21]
	v_fma_f64 v[132:133], v[64:65], s[4:5], v[145:146]
	v_add_f64 v[22:23], v[139:140], v[22:23]
	v_fma_f64 v[124:125], v[58:59], s[14:15], -v[124:125]
	v_mul_f64 v[143:144], v[92:93], s[34:35]
	v_mul_f64 v[145:146], v[90:91], s[46:47]
	v_fma_f64 v[141:142], v[86:87], s[28:29], -v[130:131]
	v_add_f64 v[14:15], v[126:127], v[14:15]
	v_add_f64 v[24:25], v[32:33], v[24:25]
	v_fma_f64 v[32:33], v[38:39], s[2:3], v[34:35]
	v_mul_f64 v[126:127], v[46:47], s[24:25]
	v_add_f64 v[20:21], v[132:133], v[20:21]
	v_fma_f64 v[132:133], v[56:57], s[14:15], v[149:150]
	v_mul_f64 v[139:140], v[44:45], s[24:25]
	v_add_f64 v[22:23], v[124:125], v[22:23]
	v_fma_f64 v[124:125], v[48:49], s[20:21], v[128:129]
	v_fma_f64 v[128:129], v[50:51], s[20:21], -v[134:135]
	v_add_f64 v[134:135], v[141:142], v[155:156]
	v_fma_f64 v[141:142], v[84:85], s[28:29], v[143:144]
	v_fma_f64 v[147:148], v[80:81], s[4:5], -v[145:146]
	v_mul_f64 v[151:152], v[82:83], s[44:45]
	v_add_f64 v[24:25], v[32:33], v[24:25]
	v_fma_f64 v[32:33], v[42:43], s[22:23], -v[126:127]
	v_add_f64 v[20:21], v[132:133], v[20:21]
	v_fma_f64 v[132:133], v[40:41], s[22:23], v[139:140]
	v_mul_f64 v[149:150], v[88:89], s[46:47]
	v_add_f64 v[128:129], v[128:129], v[22:23]
	v_fma_f64 v[34:35], v[38:39], s[2:3], -v[34:35]
	v_add_f64 v[141:142], v[141:142], v[157:158]
	v_add_f64 v[134:135], v[147:148], v[134:135]
	v_fma_f64 v[153:154], v[64:65], s[20:21], -v[151:152]
	v_mul_f64 v[157:158], v[70:71], s[40:41]
	v_add_f64 v[124:125], v[124:125], v[20:21]
	v_fma_f64 v[137:138], v[36:37], s[2:3], v[137:138]
	v_fma_f64 v[147:148], v[76:77], s[4:5], v[149:150]
	v_mul_f64 v[155:156], v[78:79], s[44:45]
	v_add_f64 v[20:21], v[32:33], v[26:27]
	v_add_f64 v[22:23], v[132:133], v[24:25]
	;; [unrolled: 1-line block ×4, first 2 shown]
	v_fma_f64 v[128:129], v[56:57], s[6:7], -v[157:158]
	v_fma_f64 v[132:133], v[84:85], s[28:29], -v[143:144]
	v_add_f64 v[24:25], v[137:138], v[124:125]
	v_add_f64 v[32:33], v[147:148], v[141:142]
	v_fma_f64 v[124:125], v[66:67], s[20:21], v[155:156]
	v_fma_f64 v[130:131], v[86:87], s[28:29], v[130:131]
	v_fma_f64 v[134:135], v[40:41], s[22:23], -v[139:140]
	v_mul_f64 v[137:138], v[68:69], s[40:41]
	v_add_f64 v[34:35], v[128:129], v[34:35]
	v_add_f64 v[128:129], v[132:133], v[165:166]
	v_fma_f64 v[132:133], v[76:77], s[4:5], -v[149:150]
	v_mul_f64 v[139:140], v[62:63], s[24:25]
	v_add_f64 v[32:33], v[124:125], v[32:33]
	v_add_f64 v[124:125], v[130:131], v[163:164]
	v_fma_f64 v[130:131], v[80:81], s[4:5], v[145:146]
	s_mov_b32 s53, 0x3fe9895b
	s_mov_b32 s52, s18
	v_fma_f64 v[141:142], v[58:59], s[6:7], v[137:138]
	v_add_f64 v[128:129], v[132:133], v[128:129]
	v_fma_f64 v[132:133], v[66:67], s[20:21], -v[155:156]
	v_fma_f64 v[143:144], v[48:49], s[22:23], -v[139:140]
	v_mul_f64 v[145:146], v[60:61], s[24:25]
	v_mul_f64 v[147:148], v[54:55], s[52:53]
	v_add_f64 v[124:125], v[130:131], v[124:125]
	v_fma_f64 v[130:131], v[64:65], s[20:21], v[151:152]
	v_fma_f64 v[126:127], v[42:43], s[22:23], v[126:127]
	v_add_f64 v[32:33], v[141:142], v[32:33]
	v_add_f64 v[128:129], v[132:133], v[128:129]
	v_fma_f64 v[132:133], v[58:59], s[6:7], -v[137:138]
	v_add_f64 v[34:35], v[143:144], v[34:35]
	v_mul_f64 v[141:142], v[52:53], s[52:53]
	v_fma_f64 v[143:144], v[36:37], s[16:17], -v[147:148]
	v_add_f64 v[124:125], v[130:131], v[124:125]
	v_fma_f64 v[130:131], v[56:57], s[6:7], v[157:158]
	v_mul_f64 v[137:138], v[94:95], s[50:51]
	v_add_f64 v[24:25], v[126:127], v[24:25]
	v_add_f64 v[128:129], v[132:133], v[128:129]
	v_fma_f64 v[132:133], v[50:51], s[22:23], -v[145:146]
	v_fma_f64 v[126:127], v[50:51], s[22:23], v[145:146]
	v_add_f64 v[34:35], v[143:144], v[34:35]
	v_mul_f64 v[145:146], v[92:93], s[50:51]
	v_add_f64 v[124:125], v[130:131], v[124:125]
	v_fma_f64 v[130:131], v[48:49], s[22:23], v[139:140]
	v_mul_f64 v[139:140], v[44:45], s[42:43]
	v_fma_f64 v[143:144], v[86:87], s[22:23], -v[137:138]
	v_mul_f64 v[149:150], v[90:91], s[42:43]
	v_add_f64 v[128:129], v[132:133], v[128:129]
	v_fma_f64 v[132:133], v[38:39], s[16:17], -v[141:142]
	v_add_f64 v[26:27], v[134:135], v[26:27]
	v_add_f64 v[32:33], v[126:127], v[32:33]
	v_fma_f64 v[126:127], v[38:39], s[16:17], v[141:142]
	v_mul_f64 v[134:135], v[46:47], s[42:43]
	v_add_f64 v[124:125], v[130:131], v[124:125]
	v_fma_f64 v[130:131], v[36:37], s[16:17], v[147:148]
	v_add_f64 v[30:31], v[143:144], v[30:31]
	v_fma_f64 v[143:144], v[84:85], s[22:23], v[145:146]
	v_fma_f64 v[147:148], v[80:81], s[14:15], -v[149:150]
	v_mul_f64 v[151:152], v[88:89], s[42:43]
	v_mul_f64 v[153:154], v[82:83], s[40:41]
	v_add_f64 v[128:129], v[132:133], v[128:129]
	v_fma_f64 v[132:133], v[40:41], s[14:15], -v[139:140]
	v_add_f64 v[126:127], v[126:127], v[32:33]
	v_fma_f64 v[32:33], v[42:43], s[14:15], -v[134:135]
	v_fma_f64 v[141:142], v[40:41], s[14:15], v[139:140]
	v_add_f64 v[124:125], v[130:131], v[124:125]
	v_fma_f64 v[130:131], v[42:43], s[14:15], v[134:135]
	v_add_f64 v[134:135], v[143:144], v[28:29]
	v_add_f64 v[139:140], v[147:148], v[30:31]
	v_fma_f64 v[143:144], v[76:77], s[14:15], v[151:152]
	v_fma_f64 v[147:148], v[64:65], s[6:7], -v[153:154]
	v_mul_f64 v[155:156], v[78:79], s[40:41]
	v_mul_f64 v[157:158], v[70:71], s[34:35]
	v_add_f64 v[30:31], v[132:133], v[128:129]
	v_fma_f64 v[128:129], v[86:87], s[22:23], v[137:138]
	v_add_f64 v[32:33], v[32:33], v[34:35]
	v_add_f64 v[34:35], v[141:142], v[126:127]
	;; [unrolled: 1-line block ×5, first 2 shown]
	v_fma_f64 v[130:131], v[66:67], s[6:7], v[155:156]
	v_fma_f64 v[132:133], v[56:57], s[28:29], -v[157:158]
	v_mul_f64 v[134:135], v[68:69], s[34:35]
	v_fma_f64 v[137:138], v[84:85], s[22:23], -v[145:146]
	v_add_f64 v[122:123], v[128:129], v[122:123]
	v_fma_f64 v[128:129], v[80:81], s[14:15], v[149:150]
	s_mov_b32 s49, 0x3fefdd0d
	s_mov_b32 s48, s30
	v_mul_f64 v[139:140], v[62:63], s[48:49]
	v_add_f64 v[124:125], v[130:131], v[124:125]
	v_fma_f64 v[130:131], v[58:59], s[28:29], v[134:135]
	v_mul_f64 v[141:142], v[60:61], s[48:49]
	v_add_f64 v[126:127], v[132:133], v[126:127]
	v_add_f64 v[120:121], v[137:138], v[120:121]
	v_fma_f64 v[132:133], v[76:77], s[14:15], -v[151:152]
	v_add_f64 v[122:123], v[128:129], v[122:123]
	v_fma_f64 v[128:129], v[64:65], s[6:7], v[153:154]
	v_fma_f64 v[137:138], v[48:49], s[2:3], -v[139:140]
	v_add_f64 v[124:125], v[130:131], v[124:125]
	v_fma_f64 v[130:131], v[50:51], s[2:3], v[141:142]
	v_mul_f64 v[143:144], v[54:55], s[26:27]
	v_mul_f64 v[145:146], v[52:53], s[26:27]
	v_add_f64 v[120:121], v[132:133], v[120:121]
	v_fma_f64 v[132:133], v[66:67], s[6:7], -v[155:156]
	v_add_f64 v[122:123], v[128:129], v[122:123]
	v_fma_f64 v[128:129], v[56:57], s[28:29], v[157:158]
	v_add_f64 v[126:127], v[137:138], v[126:127]
	v_add_f64 v[124:125], v[130:131], v[124:125]
	v_fma_f64 v[130:131], v[36:37], s[20:21], -v[143:144]
	v_fma_f64 v[137:138], v[38:39], s[20:21], v[145:146]
	v_mul_f64 v[147:148], v[46:47], s[18:19]
	v_add_f64 v[120:121], v[132:133], v[120:121]
	v_fma_f64 v[132:133], v[58:59], s[28:29], -v[134:135]
	v_mul_f64 v[134:135], v[44:45], s[18:19]
	v_add_f64 v[122:123], v[128:129], v[122:123]
	v_fma_f64 v[128:129], v[48:49], s[2:3], v[139:140]
	v_add_f64 v[126:127], v[130:131], v[126:127]
	v_add_f64 v[124:125], v[137:138], v[124:125]
	v_fma_f64 v[130:131], v[42:43], s[16:17], -v[147:148]
	v_mul_f64 v[137:138], v[94:95], s[46:47]
	v_add_f64 v[132:133], v[132:133], v[120:121]
	v_fma_f64 v[139:140], v[50:51], s[2:3], -v[141:142]
	v_fma_f64 v[141:142], v[40:41], s[16:17], v[134:135]
	v_add_f64 v[128:129], v[128:129], v[122:123]
	v_fma_f64 v[143:144], v[36:37], s[20:21], v[143:144]
	v_mul_f64 v[149:150], v[92:93], s[46:47]
	v_add_f64 v[120:121], v[130:131], v[126:127]
	v_fma_f64 v[126:127], v[86:87], s[4:5], -v[137:138]
	v_mul_f64 v[130:131], v[90:91], s[26:27]
	v_add_f64 v[132:133], v[139:140], v[132:133]
	v_fma_f64 v[139:140], v[38:39], s[20:21], -v[145:146]
	v_add_f64 v[122:123], v[141:142], v[124:125]
	v_add_f64 v[124:125], v[143:144], v[128:129]
	v_fma_f64 v[128:129], v[84:85], s[4:5], v[149:150]
	v_mul_f64 v[141:142], v[88:89], s[26:27]
	v_add_f64 v[118:119], v[126:127], v[118:119]
	v_fma_f64 v[126:127], v[80:81], s[20:21], -v[130:131]
	v_mul_f64 v[143:144], v[82:83], s[24:25]
	v_add_f64 v[132:133], v[139:140], v[132:133]
	v_fma_f64 v[139:140], v[42:43], s[16:17], v[147:148]
	v_fma_f64 v[134:135], v[40:41], s[16:17], -v[134:135]
	v_add_f64 v[128:129], v[128:129], v[116:117]
	v_fma_f64 v[145:146], v[76:77], s[20:21], v[141:142]
	v_mul_f64 v[147:148], v[78:79], s[24:25]
	v_add_f64 v[126:127], v[126:127], v[118:119]
	v_fma_f64 v[151:152], v[64:65], s[22:23], -v[143:144]
	v_mul_f64 v[153:154], v[70:71], s[48:49]
	v_add_f64 v[116:117], v[139:140], v[124:125]
	v_add_f64 v[118:119], v[134:135], v[132:133]
	v_fma_f64 v[124:125], v[86:87], s[4:5], v[137:138]
	v_add_f64 v[128:129], v[145:146], v[128:129]
	v_fma_f64 v[132:133], v[66:67], s[22:23], v[147:148]
	v_mul_f64 v[134:135], v[68:69], s[48:49]
	v_add_f64 v[126:127], v[151:152], v[126:127]
	v_fma_f64 v[137:138], v[56:57], s[2:3], -v[153:154]
	v_mul_f64 v[139:140], v[62:63], s[36:37]
	v_fma_f64 v[145:146], v[84:85], s[4:5], -v[149:150]
	v_add_f64 v[114:115], v[124:125], v[114:115]
	v_fma_f64 v[124:125], v[80:81], s[20:21], v[130:131]
	v_add_f64 v[128:129], v[132:133], v[128:129]
	v_fma_f64 v[130:131], v[58:59], s[2:3], v[134:135]
	v_mul_f64 v[132:133], v[60:61], s[36:37]
	v_add_f64 v[126:127], v[137:138], v[126:127]
	v_fma_f64 v[137:138], v[48:49], s[14:15], -v[139:140]
	v_add_f64 v[112:113], v[145:146], v[112:113]
	v_fma_f64 v[141:142], v[76:77], s[20:21], -v[141:142]
	v_add_f64 v[114:115], v[124:125], v[114:115]
	v_fma_f64 v[124:125], v[64:65], s[22:23], v[143:144]
	v_add_f64 v[128:129], v[130:131], v[128:129]
	v_fma_f64 v[130:131], v[50:51], s[14:15], v[132:133]
	v_mul_f64 v[143:144], v[54:55], s[34:35]
	v_add_f64 v[126:127], v[137:138], v[126:127]
	v_mul_f64 v[137:138], v[52:53], s[34:35]
	v_add_f64 v[112:113], v[141:142], v[112:113]
	v_fma_f64 v[141:142], v[66:67], s[22:23], -v[147:148]
	v_add_f64 v[114:115], v[124:125], v[114:115]
	v_fma_f64 v[124:125], v[56:57], s[2:3], v[153:154]
	v_add_f64 v[128:129], v[130:131], v[128:129]
	v_fma_f64 v[130:131], v[36:37], s[28:29], -v[143:144]
	v_mul_f64 v[145:146], v[46:47], s[38:39]
	v_fma_f64 v[147:148], v[38:39], s[28:29], v[137:138]
	v_mul_f64 v[149:150], v[44:45], s[38:39]
	v_add_f64 v[112:113], v[141:142], v[112:113]
	v_fma_f64 v[134:135], v[58:59], s[2:3], -v[134:135]
	v_add_f64 v[114:115], v[124:125], v[114:115]
	v_fma_f64 v[124:125], v[48:49], s[14:15], v[139:140]
	v_add_f64 v[126:127], v[130:131], v[126:127]
	v_fma_f64 v[130:131], v[42:43], s[6:7], -v[145:146]
	v_add_f64 v[128:129], v[147:148], v[128:129]
	v_fma_f64 v[139:140], v[40:41], s[6:7], v[149:150]
	v_mul_f64 v[141:142], v[94:95], s[38:39]
	v_add_f64 v[134:135], v[134:135], v[112:113]
	v_fma_f64 v[132:133], v[50:51], s[14:15], -v[132:133]
	v_add_f64 v[124:125], v[124:125], v[114:115]
	v_fma_f64 v[143:144], v[36:37], s[28:29], v[143:144]
	v_add_f64 v[112:113], v[130:131], v[126:127]
	v_mul_f64 v[130:131], v[92:93], s[38:39]
	v_add_f64 v[114:115], v[139:140], v[128:129]
	v_fma_f64 v[126:127], v[86:87], s[6:7], -v[141:142]
	v_mul_f64 v[128:129], v[90:91], s[30:31]
	v_add_f64 v[132:133], v[132:133], v[134:135]
	v_fma_f64 v[134:135], v[38:39], s[28:29], -v[137:138]
	v_add_f64 v[124:125], v[143:144], v[124:125]
	v_fma_f64 v[137:138], v[42:43], s[6:7], v[145:146]
	v_fma_f64 v[139:140], v[84:85], s[6:7], v[130:131]
	v_mul_f64 v[143:144], v[88:89], s[30:31]
	v_add_f64 v[110:111], v[126:127], v[110:111]
	v_fma_f64 v[126:127], v[80:81], s[2:3], -v[128:129]
	v_mul_f64 v[145:146], v[82:83], s[52:53]
	v_add_f64 v[132:133], v[134:135], v[132:133]
	v_fma_f64 v[134:135], v[40:41], s[6:7], -v[149:150]
	v_add_f64 v[124:125], v[137:138], v[124:125]
	v_add_f64 v[108:109], v[139:140], v[108:109]
	v_fma_f64 v[137:138], v[76:77], s[2:3], v[143:144]
	v_mul_f64 v[139:140], v[78:79], s[52:53]
	v_fma_f64 v[130:131], v[84:85], s[6:7], -v[130:131]
	v_add_f64 v[110:111], v[126:127], v[110:111]
	v_fma_f64 v[147:148], v[64:65], s[16:17], -v[145:146]
	v_mul_f64 v[149:150], v[70:71], s[26:27]
	v_fma_f64 v[141:142], v[86:87], s[6:7], v[141:142]
	v_add_f64 v[126:127], v[134:135], v[132:133]
	v_add_f64 v[108:109], v[137:138], v[108:109]
	v_fma_f64 v[132:133], v[66:67], s[16:17], v[139:140]
	v_mul_f64 v[134:135], v[68:69], s[26:27]
	v_add_f64 v[104:105], v[130:131], v[104:105]
	v_fma_f64 v[130:131], v[76:77], s[2:3], -v[143:144]
	v_add_f64 v[110:111], v[147:148], v[110:111]
	v_fma_f64 v[137:138], v[56:57], s[20:21], -v[149:150]
	v_add_f64 v[106:107], v[141:142], v[106:107]
	v_fma_f64 v[128:129], v[80:81], s[2:3], v[128:129]
	v_add_f64 v[108:109], v[132:133], v[108:109]
	v_fma_f64 v[132:133], v[58:59], s[20:21], v[134:135]
	v_mul_f64 v[141:142], v[62:63], s[34:35]
	v_mul_f64 v[143:144], v[60:61], s[34:35]
	v_add_f64 v[104:105], v[130:131], v[104:105]
	v_fma_f64 v[130:131], v[66:67], s[16:17], -v[139:140]
	v_add_f64 v[110:111], v[137:138], v[110:111]
	v_add_f64 v[106:107], v[128:129], v[106:107]
	v_fma_f64 v[128:129], v[64:65], s[16:17], v[145:146]
	v_add_f64 v[108:109], v[132:133], v[108:109]
	v_fma_f64 v[132:133], v[48:49], s[28:29], -v[141:142]
	v_fma_f64 v[137:138], v[50:51], s[28:29], v[143:144]
	v_mul_f64 v[139:140], v[54:55], s[42:43]
	v_add_f64 v[104:105], v[130:131], v[104:105]
	v_fma_f64 v[130:131], v[58:59], s[20:21], -v[134:135]
	v_mul_f64 v[94:95], v[94:95], s[44:45]
	v_add_f64 v[106:107], v[128:129], v[106:107]
	v_fma_f64 v[128:129], v[56:57], s[20:21], v[149:150]
	v_add_f64 v[110:111], v[132:133], v[110:111]
	v_add_f64 v[108:109], v[137:138], v[108:109]
	v_fma_f64 v[132:133], v[36:37], s[14:15], -v[139:140]
	v_mul_f64 v[92:93], v[92:93], s[44:45]
	v_add_f64 v[104:105], v[130:131], v[104:105]
	v_fma_f64 v[130:131], v[50:51], s[28:29], -v[143:144]
	v_fma_f64 v[137:138], v[86:87], s[20:21], -v[94:95]
	v_mul_f64 v[90:91], v[90:91], s[24:25]
	v_add_f64 v[106:107], v[128:129], v[106:107]
	v_fma_f64 v[128:129], v[48:49], s[28:29], v[141:142]
	v_add_f64 v[110:111], v[132:133], v[110:111]
	v_mul_f64 v[88:89], v[88:89], s[24:25]
	v_fma_f64 v[86:87], v[86:87], s[20:21], v[94:95]
	v_add_f64 v[104:105], v[130:131], v[104:105]
	v_fma_f64 v[130:131], v[84:85], s[20:21], v[92:93]
	v_add_f64 v[102:103], v[137:138], v[102:103]
	v_fma_f64 v[132:133], v[80:81], s[22:23], -v[90:91]
	v_fma_f64 v[84:85], v[84:85], s[20:21], -v[92:93]
	v_add_f64 v[106:107], v[128:129], v[106:107]
	v_fma_f64 v[128:129], v[36:37], s[14:15], v[139:140]
	v_mul_f64 v[82:83], v[82:83], s[42:43]
	v_add_f64 v[86:87], v[86:87], v[100:101]
	v_add_f64 v[96:97], v[130:131], v[96:97]
	v_fma_f64 v[80:81], v[80:81], s[22:23], v[90:91]
	v_add_f64 v[92:93], v[132:133], v[102:103]
	v_fma_f64 v[102:103], v[76:77], s[22:23], v[88:89]
	v_mul_f64 v[78:79], v[78:79], s[42:43]
	v_add_f64 v[84:85], v[84:85], v[98:99]
	v_fma_f64 v[76:77], v[76:77], s[22:23], -v[88:89]
	v_add_f64 v[94:95], v[128:129], v[106:107]
	v_fma_f64 v[128:129], v[64:65], s[14:15], -v[82:83]
	v_add_f64 v[80:81], v[80:81], v[86:87]
	v_mul_f64 v[70:71], v[70:71], s[18:19]
	v_add_f64 v[96:97], v[102:103], v[96:97]
	v_fma_f64 v[86:87], v[66:67], s[14:15], v[78:79]
	v_mul_f64 v[68:69], v[68:69], s[18:19]
	v_add_f64 v[76:77], v[76:77], v[84:85]
	v_fma_f64 v[64:65], v[64:65], s[14:15], v[82:83]
	v_fma_f64 v[66:67], v[66:67], s[14:15], -v[78:79]
	v_add_f64 v[92:93], v[128:129], v[92:93]
	v_mul_f64 v[62:63], v[62:63], s[38:39]
	v_mul_f64 v[60:61], v[60:61], s[38:39]
	v_add_f64 v[78:79], v[86:87], v[96:97]
	v_fma_f64 v[86:87], v[56:57], s[16:17], -v[70:71]
	v_fma_f64 v[96:97], v[58:59], s[16:17], v[68:69]
	v_add_f64 v[64:65], v[64:65], v[80:81]
	v_add_f64 v[66:67], v[66:67], v[76:77]
	v_fma_f64 v[56:57], v[56:57], s[16:17], v[70:71]
	v_fma_f64 v[58:59], v[58:59], s[16:17], -v[68:69]
	v_mul_f64 v[145:146], v[52:53], s[42:43]
	v_fma_f64 v[76:77], v[48:49], s[6:7], -v[62:63]
	v_add_f64 v[68:69], v[86:87], v[92:93]
	v_add_f64 v[70:71], v[96:97], v[78:79]
	v_fma_f64 v[78:79], v[50:51], s[6:7], v[60:61]
	v_mul_f64 v[54:55], v[54:55], s[10:11]
	v_mul_f64 v[52:53], v[52:53], s[10:11]
	v_add_f64 v[56:57], v[56:57], v[64:65]
	v_add_f64 v[58:59], v[58:59], v[66:67]
	v_fma_f64 v[48:49], v[48:49], s[6:7], v[62:63]
	v_fma_f64 v[50:51], v[50:51], s[6:7], -v[60:61]
	v_fma_f64 v[134:135], v[38:39], s[14:15], v[145:146]
	v_mul_f64 v[88:89], v[46:47], s[10:11]
	v_mul_f64 v[82:83], v[44:45], s[10:11]
	v_fma_f64 v[106:107], v[38:39], s[14:15], -v[145:146]
	v_add_f64 v[60:61], v[76:77], v[68:69]
	v_add_f64 v[62:63], v[78:79], v[70:71]
	v_fma_f64 v[64:65], v[36:37], s[4:5], -v[54:55]
	v_fma_f64 v[66:67], v[38:39], s[4:5], v[52:53]
	v_mul_f64 v[46:47], v[46:47], s[48:49]
	v_mul_f64 v[44:45], v[44:45], s[48:49]
	v_add_f64 v[48:49], v[48:49], v[56:57]
	v_add_f64 v[50:51], v[50:51], v[58:59]
	v_fma_f64 v[36:37], v[36:37], s[4:5], v[54:55]
	v_fma_f64 v[38:39], v[38:39], s[4:5], -v[52:53]
	v_add_f64 v[108:109], v[134:135], v[108:109]
	v_fma_f64 v[84:85], v[42:43], s[4:5], -v[88:89]
	v_fma_f64 v[80:81], v[40:41], s[4:5], v[82:83]
	v_fma_f64 v[52:53], v[42:43], s[4:5], v[88:89]
	v_add_f64 v[90:91], v[106:107], v[104:105]
	v_fma_f64 v[54:55], v[40:41], s[4:5], -v[82:83]
	v_add_f64 v[56:57], v[64:65], v[60:61]
	v_add_f64 v[58:59], v[66:67], v[62:63]
	v_fma_f64 v[60:61], v[42:43], s[2:3], -v[46:47]
	v_fma_f64 v[62:63], v[40:41], s[2:3], v[44:45]
	v_add_f64 v[48:49], v[36:37], v[48:49]
	v_add_f64 v[50:51], v[38:39], v[50:51]
	v_fma_f64 v[64:65], v[42:43], s[2:3], v[46:47]
	v_fma_f64 v[66:67], v[40:41], s[2:3], -v[44:45]
	s_movk_i32 s33, 0x110
	v_add_f64 v[36:37], v[84:85], v[110:111]
	v_add_f64 v[38:39], v[80:81], v[108:109]
	v_add_f64 v[40:41], v[52:53], v[94:95]
	v_mad_u32_u24 v52, v72, s33, 0
	s_movk_i32 s33, 0xf1
	v_add_f64 v[42:43], v[54:55], v[90:91]
	v_add_f64 v[44:45], v[60:61], v[56:57]
	;; [unrolled: 1-line block ×5, first 2 shown]
	s_barrier
	ds_write_b128 v52, v[4:7]
	ds_write_b128 v52, v[0:3] offset:16
	ds_write_b128 v52, v[16:19] offset:32
	;; [unrolled: 1-line block ×16, first 2 shown]
	v_mul_lo_u16_sdwa v0, v72, s33 dst_sel:DWORD dst_unused:UNUSED_PAD src0_sel:BYTE_0 src1_sel:DWORD
	v_lshrrev_b16_e32 v73, 12, v0
	v_mul_lo_u16_e32 v0, 17, v73
	v_sub_u16_e32 v137, v72, v0
	v_mov_b32_e32 v0, 8
	v_lshlrev_b32_sdwa v88, v0, v137 dst_sel:DWORD dst_unused:UNUSED_PAD src0_sel:DWORD src1_sel:BYTE_0
	s_waitcnt lgkmcnt(0)
	s_barrier
	global_load_dwordx4 v[4:7], v88, s[8:9]
	global_load_dwordx4 v[8:11], v88, s[8:9] offset:16
	global_load_dwordx4 v[12:15], v88, s[8:9] offset:32
	;; [unrolled: 1-line block ×9, first 2 shown]
	ds_read_b128 v[44:47], v136 offset:1632
	ds_read_b128 v[48:51], v136 offset:3264
	global_load_dwordx4 v[52:55], v88, s[8:9] offset:160
	global_load_dwordx4 v[60:63], v88, s[8:9] offset:176
	ds_read_b128 v[0:3], v136
	ds_read_b128 v[56:59], v136 offset:4896
	s_waitcnt vmcnt(11) lgkmcnt(3)
	v_mul_f64 v[64:65], v[46:47], v[6:7]
	v_mul_f64 v[6:7], v[44:45], v[6:7]
	s_waitcnt vmcnt(10) lgkmcnt(2)
	v_mul_f64 v[66:67], v[50:51], v[10:11]
	v_mul_f64 v[10:11], v[48:49], v[10:11]
	v_fma_f64 v[64:65], v[44:45], v[4:5], -v[64:65]
	v_fma_f64 v[68:69], v[46:47], v[4:5], v[6:7]
	v_fma_f64 v[70:71], v[48:49], v[8:9], -v[66:67]
	global_load_dwordx4 v[4:7], v88, s[8:9] offset:192
	s_waitcnt vmcnt(10) lgkmcnt(0)
	v_mul_f64 v[66:67], v[58:59], v[14:15]
	ds_read_b128 v[44:47], v136 offset:6528
	v_mul_f64 v[14:15], v[56:57], v[14:15]
	v_fma_f64 v[76:77], v[50:51], v[8:9], v[10:11]
	ds_read_b128 v[8:11], v136 offset:8160
	v_add_f64 v[80:81], v[0:1], v[64:65]
	s_waitcnt vmcnt(9) lgkmcnt(1)
	v_mul_f64 v[78:79], v[46:47], v[18:19]
	v_add_f64 v[82:83], v[2:3], v[68:69]
	v_mul_f64 v[18:19], v[44:45], v[18:19]
	global_load_dwordx4 v[48:51], v88, s[8:9] offset:208
	v_fma_f64 v[84:85], v[56:57], v[12:13], -v[66:67]
	v_fma_f64 v[86:87], v[58:59], v[12:13], v[14:15]
	s_waitcnt vmcnt(9) lgkmcnt(0)
	v_mul_f64 v[66:67], v[10:11], v[22:23]
	v_add_f64 v[56:57], v[80:81], v[70:71]
	v_fma_f64 v[94:95], v[44:45], v[16:17], -v[78:79]
	v_add_f64 v[58:59], v[82:83], v[76:77]
	v_fma_f64 v[98:99], v[46:47], v[16:17], v[18:19]
	v_mul_f64 v[22:23], v[8:9], v[22:23]
	global_load_dwordx4 v[12:15], v88, s[8:9] offset:240
	global_load_dwordx4 v[16:19], v88, s[8:9] offset:224
	ds_read_b128 v[44:47], v136 offset:9792
	v_fma_f64 v[66:67], v[8:9], v[20:21], -v[66:67]
	v_add_f64 v[78:79], v[56:57], v[84:85]
	v_add_f64 v[80:81], v[58:59], v[86:87]
	ds_read_b128 v[56:59], v136 offset:11424
	s_waitcnt vmcnt(10) lgkmcnt(1)
	v_mul_f64 v[82:83], v[46:47], v[26:27]
	v_mul_f64 v[26:27], v[44:45], v[26:27]
	v_fma_f64 v[90:91], v[10:11], v[20:21], v[22:23]
	ds_read_b128 v[8:11], v136 offset:13056
	v_add_f64 v[20:21], v[78:79], v[94:95]
	s_waitcnt vmcnt(9) lgkmcnt(1)
	v_mul_f64 v[78:79], v[58:59], v[30:31]
	v_add_f64 v[22:23], v[80:81], v[98:99]
	v_fma_f64 v[88:89], v[44:45], v[24:25], -v[82:83]
	v_fma_f64 v[92:93], v[46:47], v[24:25], v[26:27]
	v_mul_f64 v[24:25], v[56:57], v[30:31]
	v_add_f64 v[26:27], v[20:21], v[66:67]
	v_fma_f64 v[30:31], v[56:57], v[28:29], -v[78:79]
	v_add_f64 v[44:45], v[22:23], v[90:91]
	ds_read_b128 v[20:23], v136 offset:14688
	s_waitcnt vmcnt(8) lgkmcnt(1)
	v_mul_f64 v[46:47], v[10:11], v[34:35]
	v_mul_f64 v[34:35], v[8:9], v[34:35]
	v_fma_f64 v[24:25], v[58:59], v[28:29], v[24:25]
	v_add_f64 v[26:27], v[26:27], v[88:89]
	s_waitcnt vmcnt(7) lgkmcnt(0)
	v_mul_f64 v[56:57], v[22:23], v[38:39]
	v_add_f64 v[28:29], v[44:45], v[92:93]
	v_mul_f64 v[38:39], v[20:21], v[38:39]
	v_fma_f64 v[8:9], v[8:9], v[32:33], -v[46:47]
	v_fma_f64 v[10:11], v[10:11], v[32:33], v[34:35]
	ds_read_b128 v[32:35], v136 offset:16320
	ds_read_b128 v[44:47], v136 offset:17952
	v_add_f64 v[58:59], v[26:27], v[30:31]
	v_fma_f64 v[26:27], v[20:21], v[36:37], -v[56:57]
	v_add_f64 v[78:79], v[28:29], v[24:25]
	s_waitcnt vmcnt(6) lgkmcnt(1)
	v_mul_f64 v[80:81], v[34:35], v[42:43]
	v_mul_f64 v[42:43], v[32:33], v[42:43]
	v_fma_f64 v[28:29], v[22:23], v[36:37], v[38:39]
	s_waitcnt vmcnt(5) lgkmcnt(0)
	v_mul_f64 v[56:57], v[46:47], v[54:55]
	ds_read_b128 v[20:23], v136 offset:19584
	v_add_f64 v[36:37], v[58:59], v[8:9]
	v_add_f64 v[38:39], v[78:79], v[10:11]
	v_fma_f64 v[112:113], v[32:33], v[40:41], -v[80:81]
	v_fma_f64 v[110:111], v[34:35], v[40:41], v[42:43]
	ds_read_b128 v[32:35], v136 offset:21216
	v_mul_f64 v[40:41], v[44:45], v[54:55]
	s_waitcnt vmcnt(4) lgkmcnt(1)
	v_mul_f64 v[42:43], v[22:23], v[62:63]
	v_add_f64 v[36:37], v[36:37], v[26:27]
	v_fma_f64 v[102:103], v[44:45], v[52:53], -v[56:57]
	v_add_f64 v[38:39], v[38:39], v[28:29]
	v_fma_f64 v[108:109], v[46:47], v[52:53], v[40:41]
	v_mul_f64 v[40:41], v[20:21], v[62:63]
	v_add_f64 v[44:45], v[36:37], v[112:113]
	v_fma_f64 v[122:123], v[20:21], v[60:61], -v[42:43]
	v_add_f64 v[46:47], v[38:39], v[110:111]
	s_waitcnt vmcnt(3) lgkmcnt(0)
	v_mul_f64 v[52:53], v[34:35], v[6:7]
	v_mul_f64 v[6:7], v[32:33], v[6:7]
	ds_read_b128 v[36:39], v136 offset:22848
	v_fma_f64 v[96:97], v[22:23], v[60:61], v[40:41]
	ds_read_b128 v[20:23], v136 offset:24480
	v_add_f64 v[40:41], v[44:45], v[102:103]
	v_add_f64 v[42:43], v[46:47], v[108:109]
	v_fma_f64 v[56:57], v[32:33], v[4:5], -v[52:53]
	s_waitcnt vmcnt(2) lgkmcnt(1)
	v_mul_f64 v[44:45], v[38:39], v[50:51]
	v_mul_f64 v[46:47], v[36:37], v[50:51]
	v_fma_f64 v[138:139], v[34:35], v[4:5], v[6:7]
	ds_read_b128 v[4:7], v136 offset:26112
	s_waitcnt lgkmcnt(0)
	v_add_f64 v[32:33], v[40:41], v[122:123]
	v_add_f64 v[34:35], v[42:43], v[96:97]
	s_waitcnt vmcnt(0)
	s_barrier
	v_fma_f64 v[50:51], v[36:37], v[48:49], -v[44:45]
	v_fma_f64 v[48:49], v[38:39], v[48:49], v[46:47]
	v_mul_f64 v[36:37], v[4:5], v[14:15]
	v_mul_f64 v[38:39], v[22:23], v[18:19]
	;; [unrolled: 1-line block ×3, first 2 shown]
	v_add_f64 v[32:33], v[32:33], v[56:57]
	v_add_f64 v[34:35], v[34:35], v[138:139]
	v_mul_f64 v[14:15], v[6:7], v[14:15]
	v_fma_f64 v[36:37], v[6:7], v[12:13], v[36:37]
	v_fma_f64 v[42:43], v[20:21], v[16:17], -v[38:39]
	v_fma_f64 v[40:41], v[22:23], v[16:17], v[18:19]
	v_add_f64 v[6:7], v[32:33], v[50:51]
	v_add_f64 v[16:17], v[34:35], v[48:49]
	v_fma_f64 v[12:13], v[4:5], v[12:13], -v[14:15]
	v_add_f64 v[14:15], v[68:69], -v[36:37]
	v_add_f64 v[22:23], v[68:69], v[36:37]
	v_add_f64 v[4:5], v[6:7], v[42:43]
	;; [unrolled: 1-line block ×4, first 2 shown]
	v_mul_f64 v[44:45], v[14:15], s[10:11]
	v_mul_f64 v[18:19], v[14:15], s[26:27]
	;; [unrolled: 1-line block ×3, first 2 shown]
	v_add_f64 v[4:5], v[4:5], v[12:13]
	v_add_f64 v[12:13], v[64:65], -v[12:13]
	v_mul_f64 v[32:33], v[14:15], s[40:41]
	v_mul_f64 v[38:39], v[14:15], s[30:31]
	;; [unrolled: 1-line block ×5, first 2 shown]
	v_fma_f64 v[60:61], v[16:17], s[4:5], -v[44:45]
	v_fma_f64 v[62:63], v[16:17], s[4:5], v[44:45]
	v_mul_f64 v[44:45], v[12:13], s[26:27]
	v_mul_f64 v[68:69], v[12:13], s[36:37]
	v_add_f64 v[6:7], v[6:7], v[36:37]
	v_fma_f64 v[34:35], v[16:17], s[20:21], -v[18:19]
	v_fma_f64 v[18:19], v[16:17], s[20:21], v[18:19]
	v_fma_f64 v[36:37], v[16:17], s[14:15], -v[20:21]
	v_fma_f64 v[20:21], v[16:17], s[14:15], v[20:21]
	;; [unrolled: 2-line block ×5, first 2 shown]
	v_fma_f64 v[80:81], v[16:17], s[22:23], -v[54:55]
	v_mul_f64 v[78:79], v[12:13], s[40:41]
	v_fma_f64 v[140:141], v[16:17], s[22:23], v[54:55]
	v_fma_f64 v[142:143], v[16:17], s[28:29], -v[14:15]
	v_fma_f64 v[144:145], v[16:17], s[28:29], v[14:15]
	v_fma_f64 v[14:15], v[22:23], s[20:21], v[44:45]
	v_fma_f64 v[16:17], v[22:23], s[20:21], -v[44:45]
	v_fma_f64 v[44:45], v[22:23], s[14:15], v[68:69]
	v_mul_f64 v[54:55], v[12:13], s[30:31]
	v_mul_f64 v[82:83], v[12:13], s[10:11]
	v_fma_f64 v[100:101], v[22:23], s[6:7], v[78:79]
	v_mul_f64 v[104:105], v[12:13], s[18:19]
	v_fma_f64 v[78:79], v[22:23], s[6:7], -v[78:79]
	v_mul_f64 v[106:107], v[12:13], s[24:25]
	v_mul_f64 v[12:13], v[12:13], s[34:35]
	v_add_f64 v[132:133], v[2:3], v[44:45]
	v_fma_f64 v[118:119], v[22:23], s[2:3], v[54:55]
	v_fma_f64 v[54:55], v[22:23], s[2:3], -v[54:55]
	v_fma_f64 v[120:121], v[22:23], s[4:5], v[82:83]
	v_add_f64 v[126:127], v[0:1], v[46:47]
	v_add_f64 v[46:47], v[76:77], -v[40:41]
	v_add_f64 v[44:45], v[70:71], -v[42:43]
	v_fma_f64 v[68:69], v[22:23], s[14:15], -v[68:69]
	v_fma_f64 v[146:147], v[22:23], s[16:17], v[104:105]
	v_fma_f64 v[148:149], v[22:23], s[16:17], -v[104:105]
	v_fma_f64 v[154:155], v[22:23], s[28:29], v[12:13]
	v_fma_f64 v[116:117], v[22:23], s[28:29], -v[12:13]
	v_add_f64 v[156:157], v[0:1], v[34:35]
	v_add_f64 v[114:115], v[2:3], v[16:17]
	;; [unrolled: 1-line block ×10, first 2 shown]
	v_mul_f64 v[120:121], v[46:47], s[36:37]
	v_mul_f64 v[118:119], v[44:45], s[36:37]
	v_add_f64 v[78:79], v[0:1], v[52:53]
	v_add_f64 v[54:55], v[86:87], -v[48:49]
	v_add_f64 v[52:53], v[84:85], -v[50:51]
	v_fma_f64 v[82:83], v[22:23], s[4:5], -v[82:83]
	v_fma_f64 v[150:151], v[22:23], s[22:23], v[106:107]
	v_fma_f64 v[152:153], v[22:23], s[22:23], -v[106:107]
	v_add_f64 v[158:159], v[2:3], v[14:15]
	v_add_f64 v[130:131], v[0:1], v[20:21]
	;; [unrolled: 1-line block ×7, first 2 shown]
	v_fma_f64 v[58:59], v[42:43], s[14:15], -v[120:121]
	v_fma_f64 v[68:69], v[40:41], s[14:15], v[118:119]
	v_add_f64 v[48:49], v[86:87], v[48:49]
	v_add_f64 v[50:51], v[84:85], v[50:51]
	v_mul_f64 v[146:147], v[54:55], s[40:41]
	v_mul_f64 v[148:149], v[52:53], s[40:41]
	v_add_f64 v[62:63], v[98:99], -v[138:139]
	v_add_f64 v[106:107], v[0:1], v[18:19]
	v_add_f64 v[124:125], v[2:3], v[100:101]
	;; [unrolled: 1-line block ×10, first 2 shown]
	v_add_f64 v[60:61], v[94:95], -v[56:57]
	v_add_f64 v[140:141], v[68:69], v[158:159]
	v_fma_f64 v[150:151], v[50:51], s[6:7], -v[146:147]
	v_fma_f64 v[152:153], v[48:49], s[6:7], v[148:149]
	v_add_f64 v[58:59], v[94:95], v[56:57]
	v_mul_f64 v[156:157], v[62:63], s[30:31]
	v_add_f64 v[68:69], v[90:91], -v[96:97]
	v_add_f64 v[56:57], v[98:99], v[138:139]
	v_mul_f64 v[138:139], v[60:61], s[30:31]
	v_add_f64 v[84:85], v[0:1], v[142:143]
	v_add_f64 v[142:143], v[150:151], v[76:77]
	v_add_f64 v[76:77], v[66:67], -v[122:123]
	v_add_f64 v[140:141], v[152:153], v[140:141]
	v_fma_f64 v[150:151], v[58:59], s[2:3], -v[156:157]
	v_add_f64 v[66:67], v[66:67], v[122:123]
	v_mul_f64 v[152:153], v[68:69], s[10:11]
	v_add_f64 v[94:95], v[92:93], -v[108:109]
	v_fma_f64 v[122:123], v[56:57], s[2:3], v[138:139]
	v_add_f64 v[90:91], v[90:91], v[96:97]
	v_mul_f64 v[158:159], v[76:77], s[10:11]
	v_add_f64 v[98:99], v[2:3], v[154:155]
	v_add_f64 v[142:143], v[150:151], v[142:143]
	v_add_f64 v[96:97], v[88:89], -v[102:103]
	v_fma_f64 v[150:151], v[66:67], s[4:5], -v[152:153]
	v_add_f64 v[88:89], v[88:89], v[102:103]
	v_mul_f64 v[154:155], v[94:95], s[18:19]
	v_add_f64 v[38:39], v[0:1], v[38:39]
	v_add_f64 v[140:141], v[122:123], v[140:141]
	v_fma_f64 v[160:161], v[90:91], s[4:5], v[158:159]
	v_add_f64 v[102:103], v[0:1], v[144:145]
	v_add_f64 v[92:93], v[92:93], v[108:109]
	v_mul_f64 v[0:1], v[96:97], s[18:19]
	v_fma_f64 v[120:121], v[42:43], s[14:15], v[120:121]
	v_add_f64 v[142:143], v[150:151], v[142:143]
	v_fma_f64 v[144:145], v[88:89], s[16:17], -v[154:155]
	v_fma_f64 v[118:119], v[40:41], s[14:15], -v[118:119]
	v_add_f64 v[122:123], v[2:3], v[116:117]
	v_add_f64 v[2:3], v[160:161], v[140:141]
	v_fma_f64 v[146:147], v[50:51], s[6:7], v[146:147]
	v_fma_f64 v[140:141], v[92:93], s[16:17], v[0:1]
	v_add_f64 v[120:121], v[120:121], v[106:107]
	v_add_f64 v[108:109], v[24:25], -v[110:111]
	v_add_f64 v[142:143], v[144:145], v[142:143]
	v_add_f64 v[114:115], v[118:119], v[114:115]
	v_fma_f64 v[144:145], v[48:49], s[6:7], -v[148:149]
	v_add_f64 v[116:117], v[30:31], -v[112:113]
	v_fma_f64 v[138:139], v[56:57], s[2:3], -v[138:139]
	v_add_f64 v[2:3], v[140:141], v[2:3]
	v_add_f64 v[140:141], v[146:147], v[120:121]
	v_fma_f64 v[146:147], v[58:59], s[2:3], v[156:157]
	v_add_f64 v[106:107], v[30:31], v[112:113]
	v_mul_f64 v[30:31], v[108:109], s[24:25]
	v_add_f64 v[144:145], v[144:145], v[114:115]
	v_add_f64 v[112:113], v[24:25], v[110:111]
	v_mul_f64 v[148:149], v[116:117], s[24:25]
	v_add_f64 v[118:119], v[10:11], -v[28:29]
	v_add_f64 v[120:121], v[8:9], -v[26:27]
	v_add_f64 v[140:141], v[146:147], v[140:141]
	v_fma_f64 v[146:147], v[66:67], s[4:5], v[152:153]
	v_add_f64 v[110:111], v[10:11], v[28:29]
	v_add_f64 v[114:115], v[8:9], v[26:27]
	;; [unrolled: 1-line block ×3, first 2 shown]
	v_fma_f64 v[26:27], v[90:91], s[4:5], -v[158:159]
	v_fma_f64 v[24:25], v[106:107], s[22:23], -v[30:31]
	v_fma_f64 v[150:151], v[112:113], s[22:23], v[148:149]
	v_mul_f64 v[8:9], v[118:119], s[34:35]
	v_mul_f64 v[28:29], v[120:121], s[34:35]
	v_add_f64 v[138:139], v[146:147], v[140:141]
	v_fma_f64 v[140:141], v[88:89], s[16:17], v[154:155]
	v_fma_f64 v[0:1], v[92:93], s[16:17], -v[0:1]
	v_add_f64 v[10:11], v[26:27], v[10:11]
	v_add_f64 v[24:25], v[24:25], v[142:143]
	v_add_f64 v[2:3], v[150:151], v[2:3]
	v_fma_f64 v[142:143], v[114:115], s[28:29], -v[8:9]
	v_mul_f64 v[144:145], v[46:47], s[30:31]
	v_fma_f64 v[26:27], v[110:111], s[28:29], v[28:29]
	v_add_f64 v[138:139], v[140:141], v[138:139]
	v_fma_f64 v[30:31], v[106:107], s[22:23], v[30:31]
	v_mul_f64 v[140:141], v[44:45], s[30:31]
	v_add_f64 v[0:1], v[0:1], v[10:11]
	v_fma_f64 v[10:11], v[112:113], s[22:23], -v[148:149]
	v_add_f64 v[24:25], v[142:143], v[24:25]
	v_fma_f64 v[142:143], v[42:43], s[2:3], -v[144:145]
	v_mul_f64 v[146:147], v[54:55], s[18:19]
	v_add_f64 v[26:27], v[26:27], v[2:3]
	v_add_f64 v[2:3], v[30:31], v[138:139]
	v_fma_f64 v[30:31], v[40:41], s[2:3], v[140:141]
	v_mul_f64 v[138:139], v[52:53], s[18:19]
	v_add_f64 v[10:11], v[10:11], v[0:1]
	v_fma_f64 v[0:1], v[114:115], s[28:29], v[8:9]
	v_fma_f64 v[8:9], v[110:111], s[28:29], -v[28:29]
	v_add_f64 v[134:135], v[142:143], v[134:135]
	v_fma_f64 v[142:143], v[50:51], s[16:17], -v[146:147]
	v_mul_f64 v[148:149], v[62:63], s[34:35]
	v_add_f64 v[28:29], v[30:31], v[132:133]
	v_fma_f64 v[30:31], v[48:49], s[16:17], v[138:139]
	v_mul_f64 v[132:133], v[60:61], s[34:35]
	v_add_f64 v[0:1], v[0:1], v[2:3]
	v_add_f64 v[2:3], v[8:9], v[10:11]
	v_fma_f64 v[8:9], v[42:43], s[2:3], v[144:145]
	v_add_f64 v[134:135], v[142:143], v[134:135]
	v_fma_f64 v[142:143], v[58:59], s[28:29], -v[148:149]
	v_mul_f64 v[150:151], v[68:69], s[50:51]
	v_add_f64 v[10:11], v[30:31], v[28:29]
	v_fma_f64 v[28:29], v[56:57], s[28:29], v[132:133]
	v_mul_f64 v[30:31], v[76:77], s[50:51]
	v_fma_f64 v[140:141], v[40:41], s[2:3], -v[140:141]
	v_add_f64 v[8:9], v[8:9], v[130:131]
	v_fma_f64 v[130:131], v[50:51], s[16:17], v[146:147]
	v_add_f64 v[134:135], v[142:143], v[134:135]
	v_fma_f64 v[142:143], v[66:67], s[22:23], -v[150:151]
	v_mul_f64 v[144:145], v[94:95], s[46:47]
	v_add_f64 v[10:11], v[28:29], v[10:11]
	v_fma_f64 v[28:29], v[90:91], s[22:23], v[30:31]
	v_mul_f64 v[146:147], v[96:97], s[46:47]
	v_add_f64 v[128:129], v[140:141], v[128:129]
	v_fma_f64 v[138:139], v[48:49], s[16:17], -v[138:139]
	v_add_f64 v[8:9], v[130:131], v[8:9]
	v_fma_f64 v[130:131], v[58:59], s[28:29], v[148:149]
	v_add_f64 v[134:135], v[142:143], v[134:135]
	v_fma_f64 v[140:141], v[88:89], s[4:5], -v[144:145]
	v_add_f64 v[10:11], v[28:29], v[10:11]
	v_fma_f64 v[28:29], v[92:93], s[4:5], v[146:147]
	v_mul_f64 v[142:143], v[108:109], s[38:39]
	v_mul_f64 v[148:149], v[116:117], s[38:39]
	v_add_f64 v[128:129], v[138:139], v[128:129]
	v_fma_f64 v[132:133], v[56:57], s[28:29], -v[132:133]
	v_add_f64 v[8:9], v[130:131], v[8:9]
	v_fma_f64 v[130:131], v[66:67], s[22:23], v[150:151]
	v_add_f64 v[134:135], v[140:141], v[134:135]
	v_add_f64 v[10:11], v[28:29], v[10:11]
	v_fma_f64 v[28:29], v[106:107], s[6:7], -v[142:143]
	v_fma_f64 v[138:139], v[112:113], s[6:7], v[148:149]
	v_mul_f64 v[140:141], v[118:119], s[44:45]
	v_add_f64 v[128:129], v[132:133], v[128:129]
	v_fma_f64 v[30:31], v[90:91], s[22:23], -v[30:31]
	v_mul_f64 v[132:133], v[120:121], s[44:45]
	v_add_f64 v[8:9], v[130:131], v[8:9]
	v_fma_f64 v[130:131], v[88:89], s[4:5], v[144:145]
	v_add_f64 v[28:29], v[28:29], v[134:135]
	v_add_f64 v[10:11], v[138:139], v[10:11]
	v_fma_f64 v[134:135], v[114:115], s[20:21], -v[140:141]
	v_mul_f64 v[138:139], v[46:47], s[18:19]
	v_add_f64 v[30:31], v[30:31], v[128:129]
	v_fma_f64 v[128:129], v[92:93], s[4:5], -v[146:147]
	v_fma_f64 v[144:145], v[110:111], s[20:21], v[132:133]
	v_add_f64 v[8:9], v[130:131], v[8:9]
	v_fma_f64 v[130:131], v[106:107], s[6:7], v[142:143]
	v_mul_f64 v[142:143], v[44:45], s[18:19]
	v_add_f64 v[28:29], v[134:135], v[28:29]
	v_fma_f64 v[134:135], v[42:43], s[16:17], -v[138:139]
	v_mul_f64 v[146:147], v[54:55], s[54:55]
	v_add_f64 v[128:129], v[128:129], v[30:31]
	v_fma_f64 v[148:149], v[112:113], s[6:7], -v[148:149]
	v_add_f64 v[30:31], v[144:145], v[10:11]
	v_add_f64 v[8:9], v[130:131], v[8:9]
	v_fma_f64 v[10:11], v[40:41], s[16:17], v[142:143]
	v_mul_f64 v[130:131], v[52:53], s[54:55]
	v_add_f64 v[126:127], v[134:135], v[126:127]
	v_fma_f64 v[134:135], v[50:51], s[28:29], -v[146:147]
	v_mul_f64 v[144:145], v[62:63], s[46:47]
	v_add_f64 v[128:129], v[148:149], v[128:129]
	v_fma_f64 v[140:141], v[114:115], s[20:21], v[140:141]
	v_fma_f64 v[132:133], v[110:111], s[20:21], -v[132:133]
	v_add_f64 v[124:125], v[10:11], v[124:125]
	v_fma_f64 v[148:149], v[48:49], s[28:29], v[130:131]
	v_mul_f64 v[150:151], v[60:61], s[46:47]
	v_add_f64 v[126:127], v[134:135], v[126:127]
	v_fma_f64 v[134:135], v[58:59], s[4:5], -v[144:145]
	v_mul_f64 v[152:153], v[68:69], s[42:43]
	v_add_f64 v[8:9], v[140:141], v[8:9]
	v_add_f64 v[10:11], v[132:133], v[128:129]
	v_fma_f64 v[128:129], v[42:43], s[16:17], v[138:139]
	v_add_f64 v[124:125], v[148:149], v[124:125]
	v_fma_f64 v[132:133], v[56:57], s[4:5], v[150:151]
	v_mul_f64 v[138:139], v[76:77], s[42:43]
	v_fma_f64 v[140:141], v[40:41], s[16:17], -v[142:143]
	v_add_f64 v[126:127], v[134:135], v[126:127]
	v_fma_f64 v[134:135], v[66:67], s[14:15], -v[152:153]
	v_mul_f64 v[142:143], v[94:95], s[26:27]
	v_add_f64 v[34:35], v[128:129], v[34:35]
	v_fma_f64 v[128:129], v[50:51], s[28:29], v[146:147]
	v_add_f64 v[124:125], v[132:133], v[124:125]
	v_fma_f64 v[132:133], v[90:91], s[14:15], v[138:139]
	v_mul_f64 v[146:147], v[96:97], s[26:27]
	v_add_f64 v[32:33], v[140:141], v[32:33]
	v_fma_f64 v[130:131], v[48:49], s[28:29], -v[130:131]
	v_add_f64 v[126:127], v[134:135], v[126:127]
	v_fma_f64 v[134:135], v[88:89], s[20:21], -v[142:143]
	v_add_f64 v[34:35], v[128:129], v[34:35]
	v_fma_f64 v[128:129], v[58:59], s[4:5], v[144:145]
	v_add_f64 v[124:125], v[132:133], v[124:125]
	v_fma_f64 v[132:133], v[92:93], s[20:21], v[146:147]
	v_mul_f64 v[140:141], v[108:109], s[30:31]
	v_mul_f64 v[144:145], v[116:117], s[30:31]
	v_add_f64 v[32:33], v[130:131], v[32:33]
	v_fma_f64 v[130:131], v[56:57], s[4:5], -v[150:151]
	v_add_f64 v[126:127], v[134:135], v[126:127]
	v_add_f64 v[34:35], v[128:129], v[34:35]
	v_fma_f64 v[128:129], v[66:67], s[14:15], v[152:153]
	v_add_f64 v[124:125], v[132:133], v[124:125]
	v_fma_f64 v[132:133], v[106:107], s[2:3], -v[140:141]
	v_fma_f64 v[134:135], v[112:113], s[2:3], v[144:145]
	v_mul_f64 v[148:149], v[118:119], s[24:25]
	v_add_f64 v[32:33], v[130:131], v[32:33]
	v_fma_f64 v[130:131], v[90:91], s[14:15], -v[138:139]
	v_mul_f64 v[138:139], v[120:121], s[24:25]
	v_add_f64 v[34:35], v[128:129], v[34:35]
	v_fma_f64 v[128:129], v[88:89], s[20:21], v[142:143]
	v_add_f64 v[126:127], v[132:133], v[126:127]
	v_add_f64 v[124:125], v[134:135], v[124:125]
	v_fma_f64 v[132:133], v[114:115], s[22:23], -v[148:149]
	v_mul_f64 v[134:135], v[46:47], s[34:35]
	v_add_f64 v[130:131], v[130:131], v[32:33]
	v_fma_f64 v[142:143], v[92:93], s[20:21], -v[146:147]
	v_fma_f64 v[146:147], v[110:111], s[22:23], v[138:139]
	v_add_f64 v[128:129], v[128:129], v[34:35]
	v_fma_f64 v[140:141], v[106:107], s[2:3], v[140:141]
	v_mul_f64 v[150:151], v[44:45], s[34:35]
	v_add_f64 v[32:33], v[132:133], v[126:127]
	v_fma_f64 v[126:127], v[42:43], s[28:29], -v[134:135]
	v_mul_f64 v[132:133], v[54:55], s[46:47]
	v_add_f64 v[130:131], v[142:143], v[130:131]
	v_fma_f64 v[142:143], v[112:113], s[2:3], -v[144:145]
	v_add_f64 v[34:35], v[146:147], v[124:125]
	v_add_f64 v[124:125], v[140:141], v[128:129]
	v_fma_f64 v[128:129], v[40:41], s[28:29], v[150:151]
	v_mul_f64 v[140:141], v[52:53], s[46:47]
	v_add_f64 v[14:15], v[126:127], v[14:15]
	v_fma_f64 v[126:127], v[50:51], s[4:5], -v[132:133]
	v_mul_f64 v[144:145], v[62:63], s[44:45]
	v_add_f64 v[130:131], v[142:143], v[130:131]
	v_fma_f64 v[142:143], v[114:115], s[22:23], v[148:149]
	v_fma_f64 v[138:139], v[110:111], s[22:23], -v[138:139]
	v_add_f64 v[128:129], v[128:129], v[12:13]
	v_fma_f64 v[146:147], v[48:49], s[4:5], v[140:141]
	v_mul_f64 v[148:149], v[60:61], s[44:45]
	v_add_f64 v[126:127], v[126:127], v[14:15]
	v_fma_f64 v[152:153], v[58:59], s[20:21], -v[144:145]
	v_mul_f64 v[154:155], v[68:69], s[40:41]
	v_add_f64 v[12:13], v[142:143], v[124:125]
	v_fma_f64 v[124:125], v[42:43], s[28:29], v[134:135]
	v_add_f64 v[14:15], v[138:139], v[130:131]
	v_add_f64 v[128:129], v[146:147], v[128:129]
	v_fma_f64 v[130:131], v[56:57], s[20:21], v[148:149]
	v_mul_f64 v[134:135], v[76:77], s[40:41]
	v_add_f64 v[126:127], v[152:153], v[126:127]
	v_fma_f64 v[138:139], v[66:67], s[6:7], -v[154:155]
	v_fma_f64 v[142:143], v[40:41], s[28:29], -v[150:151]
	v_add_f64 v[38:39], v[124:125], v[38:39]
	v_fma_f64 v[124:125], v[50:51], s[4:5], v[132:133]
	v_mul_f64 v[146:147], v[94:95], s[24:25]
	v_add_f64 v[128:129], v[130:131], v[128:129]
	v_fma_f64 v[130:131], v[90:91], s[6:7], v[134:135]
	v_mul_f64 v[132:133], v[96:97], s[24:25]
	v_add_f64 v[126:127], v[138:139], v[126:127]
	v_add_f64 v[36:37], v[142:143], v[36:37]
	v_fma_f64 v[138:139], v[48:49], s[4:5], -v[140:141]
	v_add_f64 v[38:39], v[124:125], v[38:39]
	v_fma_f64 v[124:125], v[58:59], s[20:21], v[144:145]
	v_fma_f64 v[140:141], v[88:89], s[22:23], -v[146:147]
	v_add_f64 v[128:129], v[130:131], v[128:129]
	v_fma_f64 v[130:131], v[92:93], s[22:23], v[132:133]
	v_mul_f64 v[142:143], v[108:109], s[52:53]
	v_mul_f64 v[144:145], v[116:117], s[52:53]
	v_add_f64 v[36:37], v[138:139], v[36:37]
	v_fma_f64 v[138:139], v[56:57], s[20:21], -v[148:149]
	v_add_f64 v[38:39], v[124:125], v[38:39]
	v_fma_f64 v[124:125], v[66:67], s[6:7], v[154:155]
	v_add_f64 v[126:127], v[140:141], v[126:127]
	v_add_f64 v[128:129], v[130:131], v[128:129]
	v_fma_f64 v[130:131], v[106:107], s[16:17], -v[142:143]
	v_fma_f64 v[140:141], v[112:113], s[16:17], v[144:145]
	v_mul_f64 v[148:149], v[118:119], s[42:43]
	v_add_f64 v[36:37], v[138:139], v[36:37]
	v_fma_f64 v[134:135], v[90:91], s[6:7], -v[134:135]
	v_mul_f64 v[138:139], v[120:121], s[42:43]
	v_add_f64 v[38:39], v[124:125], v[38:39]
	v_fma_f64 v[124:125], v[88:89], s[22:23], v[146:147]
	v_add_f64 v[126:127], v[130:131], v[126:127]
	v_add_f64 v[128:129], v[140:141], v[128:129]
	v_fma_f64 v[130:131], v[114:115], s[14:15], -v[148:149]
	v_mul_f64 v[140:141], v[46:47], s[50:51]
	v_add_f64 v[134:135], v[134:135], v[36:37]
	v_fma_f64 v[132:133], v[92:93], s[22:23], -v[132:133]
	v_fma_f64 v[146:147], v[110:111], s[14:15], v[138:139]
	v_add_f64 v[124:125], v[124:125], v[38:39]
	v_fma_f64 v[142:143], v[106:107], s[16:17], v[142:143]
	v_mul_f64 v[150:151], v[44:45], s[50:51]
	v_add_f64 v[36:37], v[130:131], v[126:127]
	v_fma_f64 v[126:127], v[42:43], s[22:23], -v[140:141]
	v_mul_f64 v[130:131], v[54:55], s[42:43]
	v_add_f64 v[132:133], v[132:133], v[134:135]
	v_fma_f64 v[134:135], v[112:113], s[16:17], -v[144:145]
	v_add_f64 v[38:39], v[146:147], v[128:129]
	v_add_f64 v[124:125], v[142:143], v[124:125]
	v_fma_f64 v[128:129], v[40:41], s[22:23], v[150:151]
	v_mul_f64 v[142:143], v[52:53], s[42:43]
	v_add_f64 v[18:19], v[126:127], v[18:19]
	v_fma_f64 v[126:127], v[50:51], s[14:15], -v[130:131]
	v_mul_f64 v[144:145], v[62:63], s[40:41]
	v_add_f64 v[132:133], v[134:135], v[132:133]
	v_fma_f64 v[134:135], v[114:115], s[14:15], v[148:149]
	v_fma_f64 v[138:139], v[110:111], s[14:15], -v[138:139]
	v_add_f64 v[128:129], v[128:129], v[16:17]
	v_fma_f64 v[146:147], v[48:49], s[14:15], v[142:143]
	v_mul_f64 v[148:149], v[60:61], s[40:41]
	v_add_f64 v[126:127], v[126:127], v[18:19]
	v_fma_f64 v[152:153], v[58:59], s[6:7], -v[144:145]
	v_mul_f64 v[154:155], v[68:69], s[34:35]
	v_add_f64 v[16:17], v[134:135], v[124:125]
	v_add_f64 v[18:19], v[138:139], v[132:133]
	v_fma_f64 v[124:125], v[42:43], s[22:23], v[140:141]
	v_add_f64 v[128:129], v[146:147], v[128:129]
	v_fma_f64 v[132:133], v[56:57], s[6:7], v[148:149]
	v_mul_f64 v[134:135], v[76:77], s[34:35]
	v_add_f64 v[126:127], v[152:153], v[126:127]
	v_fma_f64 v[138:139], v[66:67], s[28:29], -v[154:155]
	v_fma_f64 v[140:141], v[40:41], s[22:23], -v[150:151]
	v_mul_f64 v[146:147], v[94:95], s[48:49]
	v_add_f64 v[104:105], v[124:125], v[104:105]
	v_fma_f64 v[124:125], v[50:51], s[14:15], v[130:131]
	v_add_f64 v[128:129], v[132:133], v[128:129]
	v_fma_f64 v[130:131], v[90:91], s[28:29], v[134:135]
	v_mul_f64 v[132:133], v[96:97], s[48:49]
	v_add_f64 v[126:127], v[138:139], v[126:127]
	v_add_f64 v[100:101], v[140:141], v[100:101]
	v_fma_f64 v[138:139], v[48:49], s[14:15], -v[142:143]
	v_fma_f64 v[140:141], v[88:89], s[2:3], -v[146:147]
	v_add_f64 v[104:105], v[124:125], v[104:105]
	v_fma_f64 v[124:125], v[58:59], s[6:7], v[144:145]
	v_add_f64 v[128:129], v[130:131], v[128:129]
	v_fma_f64 v[130:131], v[92:93], s[2:3], v[132:133]
	v_mul_f64 v[142:143], v[108:109], s[26:27]
	v_mul_f64 v[144:145], v[116:117], s[26:27]
	v_add_f64 v[100:101], v[138:139], v[100:101]
	v_fma_f64 v[138:139], v[56:57], s[6:7], -v[148:149]
	v_add_f64 v[126:127], v[140:141], v[126:127]
	v_add_f64 v[104:105], v[124:125], v[104:105]
	v_fma_f64 v[124:125], v[66:67], s[28:29], v[154:155]
	v_add_f64 v[128:129], v[130:131], v[128:129]
	v_fma_f64 v[130:131], v[106:107], s[20:21], -v[142:143]
	v_fma_f64 v[140:141], v[112:113], s[20:21], v[144:145]
	v_mul_f64 v[148:149], v[118:119], s[18:19]
	v_add_f64 v[100:101], v[138:139], v[100:101]
	v_fma_f64 v[134:135], v[90:91], s[28:29], -v[134:135]
	v_mul_f64 v[138:139], v[120:121], s[18:19]
	v_add_f64 v[104:105], v[124:125], v[104:105]
	v_fma_f64 v[124:125], v[88:89], s[2:3], v[146:147]
	v_add_f64 v[126:127], v[130:131], v[126:127]
	v_add_f64 v[128:129], v[140:141], v[128:129]
	v_fma_f64 v[130:131], v[114:115], s[16:17], -v[148:149]
	v_mul_f64 v[140:141], v[46:47], s[46:47]
	v_add_f64 v[100:101], v[134:135], v[100:101]
	v_fma_f64 v[132:133], v[92:93], s[2:3], -v[132:133]
	v_fma_f64 v[134:135], v[110:111], s[16:17], v[138:139]
	v_add_f64 v[104:105], v[124:125], v[104:105]
	v_fma_f64 v[142:143], v[106:107], s[20:21], v[142:143]
	v_mul_f64 v[146:147], v[44:45], s[46:47]
	v_add_f64 v[124:125], v[130:131], v[126:127]
	v_fma_f64 v[130:131], v[42:43], s[4:5], -v[140:141]
	v_mul_f64 v[150:151], v[54:55], s[26:27]
	v_add_f64 v[100:101], v[132:133], v[100:101]
	v_fma_f64 v[132:133], v[112:113], s[20:21], -v[144:145]
	v_add_f64 v[126:127], v[134:135], v[128:129]
	v_add_f64 v[104:105], v[142:143], v[104:105]
	v_fma_f64 v[128:129], v[40:41], s[4:5], v[146:147]
	v_mul_f64 v[134:135], v[52:53], s[26:27]
	v_add_f64 v[22:23], v[130:131], v[22:23]
	v_fma_f64 v[130:131], v[50:51], s[20:21], -v[150:151]
	v_mul_f64 v[142:143], v[62:63], s[24:25]
	v_add_f64 v[100:101], v[132:133], v[100:101]
	v_fma_f64 v[132:133], v[114:115], s[16:17], v[148:149]
	v_fma_f64 v[138:139], v[110:111], s[16:17], -v[138:139]
	v_add_f64 v[128:129], v[128:129], v[20:21]
	v_fma_f64 v[144:145], v[48:49], s[20:21], v[134:135]
	v_mul_f64 v[148:149], v[60:61], s[24:25]
	v_add_f64 v[130:131], v[130:131], v[22:23]
	v_fma_f64 v[152:153], v[58:59], s[22:23], -v[142:143]
	v_mul_f64 v[154:155], v[68:69], s[48:49]
	v_add_f64 v[20:21], v[132:133], v[104:105]
	v_add_f64 v[22:23], v[138:139], v[100:101]
	v_fma_f64 v[100:101], v[42:43], s[4:5], v[140:141]
	v_add_f64 v[104:105], v[144:145], v[128:129]
	v_fma_f64 v[128:129], v[56:57], s[22:23], v[148:149]
	v_mul_f64 v[132:133], v[76:77], s[48:49]
	v_add_f64 v[130:131], v[152:153], v[130:131]
	v_fma_f64 v[138:139], v[66:67], s[2:3], -v[154:155]
	v_mul_f64 v[140:141], v[94:95], s[36:37]
	v_fma_f64 v[144:145], v[40:41], s[4:5], -v[146:147]
	v_add_f64 v[78:79], v[100:101], v[78:79]
	v_fma_f64 v[100:101], v[50:51], s[20:21], v[150:151]
	v_add_f64 v[104:105], v[128:129], v[104:105]
	v_fma_f64 v[128:129], v[90:91], s[2:3], v[132:133]
	v_mul_f64 v[146:147], v[96:97], s[36:37]
	v_add_f64 v[130:131], v[138:139], v[130:131]
	v_fma_f64 v[138:139], v[88:89], s[14:15], -v[140:141]
	v_add_f64 v[70:71], v[144:145], v[70:71]
	v_fma_f64 v[134:135], v[48:49], s[20:21], -v[134:135]
	v_add_f64 v[78:79], v[100:101], v[78:79]
	v_fma_f64 v[100:101], v[58:59], s[22:23], v[142:143]
	v_add_f64 v[104:105], v[128:129], v[104:105]
	v_fma_f64 v[128:129], v[92:93], s[14:15], v[146:147]
	v_mul_f64 v[142:143], v[108:109], s[34:35]
	v_add_f64 v[130:131], v[138:139], v[130:131]
	v_mul_f64 v[138:139], v[116:117], s[34:35]
	v_add_f64 v[70:71], v[134:135], v[70:71]
	v_fma_f64 v[134:135], v[56:57], s[22:23], -v[148:149]
	v_add_f64 v[78:79], v[100:101], v[78:79]
	v_fma_f64 v[100:101], v[66:67], s[2:3], v[154:155]
	v_add_f64 v[104:105], v[128:129], v[104:105]
	v_fma_f64 v[128:129], v[106:107], s[28:29], -v[142:143]
	v_mul_f64 v[144:145], v[118:119], s[38:39]
	v_fma_f64 v[148:149], v[112:113], s[28:29], v[138:139]
	v_mul_f64 v[150:151], v[120:121], s[38:39]
	v_add_f64 v[70:71], v[134:135], v[70:71]
	v_fma_f64 v[132:133], v[90:91], s[2:3], -v[132:133]
	v_add_f64 v[78:79], v[100:101], v[78:79]
	v_fma_f64 v[100:101], v[88:89], s[14:15], v[140:141]
	v_add_f64 v[128:129], v[128:129], v[130:131]
	v_fma_f64 v[130:131], v[114:115], s[6:7], -v[144:145]
	v_add_f64 v[104:105], v[148:149], v[104:105]
	v_fma_f64 v[134:135], v[110:111], s[6:7], v[150:151]
	v_mul_f64 v[140:141], v[46:47], s[38:39]
	v_add_f64 v[70:71], v[132:133], v[70:71]
	v_fma_f64 v[132:133], v[92:93], s[14:15], -v[146:147]
	v_add_f64 v[78:79], v[100:101], v[78:79]
	v_fma_f64 v[100:101], v[106:107], s[28:29], v[142:143]
	v_add_f64 v[128:129], v[130:131], v[128:129]
	v_mul_f64 v[142:143], v[44:45], s[38:39]
	v_add_f64 v[130:131], v[134:135], v[104:105]
	v_fma_f64 v[104:105], v[42:43], s[6:7], -v[140:141]
	v_mul_f64 v[134:135], v[54:55], s[30:31]
	v_add_f64 v[70:71], v[132:133], v[70:71]
	v_fma_f64 v[132:133], v[112:113], s[28:29], -v[138:139]
	v_add_f64 v[78:79], v[100:101], v[78:79]
	v_fma_f64 v[100:101], v[114:115], s[6:7], v[144:145]
	v_fma_f64 v[138:139], v[40:41], s[6:7], v[142:143]
	v_mul_f64 v[144:145], v[52:53], s[30:31]
	v_add_f64 v[82:83], v[104:105], v[82:83]
	v_fma_f64 v[104:105], v[50:51], s[2:3], -v[134:135]
	v_mul_f64 v[146:147], v[62:63], s[52:53]
	v_add_f64 v[70:71], v[132:133], v[70:71]
	v_fma_f64 v[132:133], v[110:111], s[6:7], -v[150:151]
	v_add_f64 v[78:79], v[100:101], v[78:79]
	v_add_f64 v[100:101], v[138:139], v[80:81]
	v_fma_f64 v[138:139], v[48:49], s[2:3], v[144:145]
	v_mul_f64 v[148:149], v[60:61], s[52:53]
	v_add_f64 v[82:83], v[104:105], v[82:83]
	v_fma_f64 v[104:105], v[58:59], s[16:17], -v[146:147]
	v_mul_f64 v[150:151], v[68:69], s[26:27]
	v_fma_f64 v[140:141], v[42:43], s[6:7], v[140:141]
	v_add_f64 v[80:81], v[132:133], v[70:71]
	v_fma_f64 v[70:71], v[40:41], s[6:7], -v[142:143]
	v_add_f64 v[100:101], v[138:139], v[100:101]
	v_fma_f64 v[132:133], v[56:57], s[16:17], v[148:149]
	v_mul_f64 v[138:139], v[76:77], s[26:27]
	v_add_f64 v[82:83], v[104:105], v[82:83]
	v_fma_f64 v[104:105], v[66:67], s[20:21], -v[150:151]
	v_add_f64 v[64:65], v[140:141], v[64:65]
	v_fma_f64 v[134:135], v[50:51], s[2:3], v[134:135]
	v_add_f64 v[70:71], v[70:71], v[86:87]
	v_fma_f64 v[86:87], v[48:49], s[2:3], -v[144:145]
	v_add_f64 v[100:101], v[132:133], v[100:101]
	v_fma_f64 v[132:133], v[90:91], s[20:21], v[138:139]
	v_mul_f64 v[140:141], v[94:95], s[34:35]
	v_add_f64 v[82:83], v[104:105], v[82:83]
	v_fma_f64 v[104:105], v[58:59], s[16:17], v[146:147]
	v_add_f64 v[64:65], v[134:135], v[64:65]
	v_mul_f64 v[142:143], v[96:97], s[34:35]
	v_add_f64 v[70:71], v[86:87], v[70:71]
	v_fma_f64 v[86:87], v[56:57], s[16:17], -v[148:149]
	v_add_f64 v[100:101], v[132:133], v[100:101]
	v_fma_f64 v[132:133], v[88:89], s[28:29], -v[140:141]
	v_mul_f64 v[144:145], v[108:109], s[42:43]
	v_mul_f64 v[46:47], v[46:47], s[44:45]
	v_add_f64 v[64:65], v[104:105], v[64:65]
	v_fma_f64 v[104:105], v[66:67], s[20:21], v[150:151]
	v_mul_f64 v[44:45], v[44:45], s[44:45]
	v_add_f64 v[70:71], v[86:87], v[70:71]
	v_fma_f64 v[86:87], v[90:91], s[20:21], -v[138:139]
	v_add_f64 v[82:83], v[132:133], v[82:83]
	v_fma_f64 v[132:133], v[106:107], s[14:15], -v[144:145]
	v_mul_f64 v[146:147], v[116:117], s[42:43]
	v_mul_f64 v[54:55], v[54:55], s[24:25]
	v_add_f64 v[64:65], v[104:105], v[64:65]
	v_fma_f64 v[104:105], v[88:89], s[28:29], v[140:141]
	v_mul_f64 v[52:53], v[52:53], s[24:25]
	v_add_f64 v[70:71], v[86:87], v[70:71]
	v_fma_f64 v[86:87], v[92:93], s[28:29], -v[142:143]
	v_add_f64 v[82:83], v[132:133], v[82:83]
	v_fma_f64 v[132:133], v[42:43], s[20:21], -v[46:47]
	v_fma_f64 v[42:43], v[42:43], s[20:21], v[46:47]
	v_mul_f64 v[46:47], v[62:63], s[42:43]
	v_add_f64 v[64:65], v[104:105], v[64:65]
	v_fma_f64 v[104:105], v[106:107], s[14:15], v[144:145]
	v_mul_f64 v[68:69], v[68:69], s[18:19]
	v_add_f64 v[70:71], v[86:87], v[70:71]
	v_fma_f64 v[86:87], v[40:41], s[20:21], v[44:45]
	v_fma_f64 v[40:41], v[40:41], s[20:21], -v[44:45]
	v_add_f64 v[84:85], v[132:133], v[84:85]
	v_fma_f64 v[132:133], v[50:51], s[22:23], -v[54:55]
	v_add_f64 v[42:43], v[42:43], v[102:103]
	v_add_f64 v[62:63], v[104:105], v[64:65]
	v_fma_f64 v[64:65], v[112:113], s[14:15], -v[146:147]
	v_fma_f64 v[50:51], v[50:51], s[22:23], v[54:55]
	v_add_f64 v[86:87], v[86:87], v[98:99]
	v_fma_f64 v[98:99], v[48:49], s[22:23], v[52:53]
	v_mul_f64 v[54:55], v[60:61], s[42:43]
	v_add_f64 v[40:41], v[40:41], v[122:123]
	v_fma_f64 v[48:49], v[48:49], s[22:23], -v[52:53]
	v_add_f64 v[44:45], v[132:133], v[84:85]
	v_fma_f64 v[84:85], v[58:59], s[14:15], -v[46:47]
	v_add_f64 v[60:61], v[64:65], v[70:71]
	v_add_f64 v[42:43], v[50:51], v[42:43]
	;; [unrolled: 1-line block ×3, first 2 shown]
	v_fma_f64 v[50:51], v[56:57], s[14:15], v[54:55]
	v_fma_f64 v[46:47], v[58:59], s[14:15], v[46:47]
	v_mul_f64 v[58:59], v[76:77], s[18:19]
	v_add_f64 v[40:41], v[48:49], v[40:41]
	v_fma_f64 v[54:55], v[56:57], s[14:15], -v[54:55]
	v_add_f64 v[44:45], v[84:85], v[44:45]
	v_mul_f64 v[70:71], v[94:95], s[38:39]
	v_mul_f64 v[76:77], v[96:97], s[38:39]
	v_add_f64 v[50:51], v[50:51], v[64:65]
	v_fma_f64 v[64:65], v[66:67], s[16:17], -v[68:69]
	v_add_f64 v[42:43], v[46:47], v[42:43]
	v_fma_f64 v[46:47], v[90:91], s[16:17], v[58:59]
	v_add_f64 v[40:41], v[54:55], v[40:41]
	v_fma_f64 v[66:67], v[66:67], s[16:17], v[68:69]
	v_fma_f64 v[58:59], v[90:91], s[16:17], -v[58:59]
	v_fma_f64 v[134:135], v[92:93], s[28:29], v[142:143]
	v_mul_f64 v[68:69], v[108:109], s[10:11]
	v_add_f64 v[44:45], v[64:65], v[44:45]
	v_fma_f64 v[64:65], v[92:93], s[6:7], v[76:77]
	v_add_f64 v[46:47], v[46:47], v[50:51]
	v_fma_f64 v[50:51], v[88:89], s[6:7], -v[70:71]
	v_mul_f64 v[84:85], v[116:117], s[10:11]
	v_add_f64 v[42:43], v[66:67], v[42:43]
	v_add_f64 v[40:41], v[58:59], v[40:41]
	v_fma_f64 v[58:59], v[88:89], s[6:7], v[70:71]
	v_fma_f64 v[66:67], v[92:93], s[6:7], -v[76:77]
	v_mul_f64 v[56:57], v[120:121], s[10:11]
	v_add_f64 v[100:101], v[134:135], v[100:101]
	v_fma_f64 v[134:135], v[112:113], s[14:15], v[146:147]
	v_mul_f64 v[52:53], v[118:119], s[10:11]
	v_add_f64 v[44:45], v[50:51], v[44:45]
	v_add_f64 v[46:47], v[64:65], v[46:47]
	v_fma_f64 v[50:51], v[106:107], s[4:5], -v[68:69]
	v_fma_f64 v[64:65], v[112:113], s[4:5], v[84:85]
	v_mul_f64 v[70:71], v[118:119], s[48:49]
	v_mul_f64 v[76:77], v[120:121], s[48:49]
	v_add_f64 v[42:43], v[58:59], v[42:43]
	v_add_f64 v[40:41], v[66:67], v[40:41]
	v_fma_f64 v[58:59], v[106:107], s[4:5], v[68:69]
	v_fma_f64 v[66:67], v[112:113], s[4:5], -v[84:85]
	v_fma_f64 v[54:55], v[110:111], s[4:5], v[56:57]
	v_fma_f64 v[56:57], v[110:111], s[4:5], -v[56:57]
	v_add_f64 v[100:101], v[134:135], v[100:101]
	v_fma_f64 v[48:49], v[114:115], s[4:5], -v[52:53]
	v_fma_f64 v[52:53], v[114:115], s[4:5], v[52:53]
	v_add_f64 v[50:51], v[50:51], v[44:45]
	v_add_f64 v[64:65], v[64:65], v[46:47]
	v_fma_f64 v[68:69], v[114:115], s[2:3], -v[70:71]
	v_fma_f64 v[84:85], v[110:111], s[2:3], v[76:77]
	v_add_f64 v[58:59], v[58:59], v[42:43]
	v_add_f64 v[66:67], v[66:67], v[40:41]
	v_fma_f64 v[70:71], v[114:115], s[2:3], v[70:71]
	v_fma_f64 v[76:77], v[110:111], s[2:3], -v[76:77]
	v_add_f64 v[46:47], v[56:57], v[60:61]
	v_mov_b32_e32 v56, 4
	v_lshlrev_b32_sdwa v56, v56, v137 dst_sel:DWORD dst_unused:UNUSED_PAD src0_sel:DWORD src1_sel:BYTE_0
	v_mul_u32_u24_e32 v57, 0x1210, v73
	v_add_f64 v[40:41], v[48:49], v[82:83]
	v_add_f64 v[42:43], v[54:55], v[100:101]
	;; [unrolled: 1-line block ×7, first 2 shown]
	v_add3_u32 v56, 0, v57, v56
	ds_write_b128 v56, v[4:7]
	ds_write_b128 v56, v[24:27] offset:272
	ds_write_b128 v56, v[28:31] offset:544
	;; [unrolled: 1-line block ×16, first 2 shown]
	s_waitcnt lgkmcnt(0)
	s_barrier
	ds_read_b128 v[28:31], v136
	ds_read_b128 v[24:27], v136 offset:1632
	ds_read_b128 v[52:55], v136 offset:4624
	;; [unrolled: 1-line block ×11, first 2 shown]
	s_movk_i32 s2, 0x55
	v_cmp_gt_u32_e32 vcc, s2, v72
                                        ; implicit-def: $vgpr6_vgpr7
	s_and_saveexec_b64 s[2:3], vcc
	s_cbranch_execz .LBB0_21
; %bb.20:
	ds_read_b128 v[20:23], v136 offset:3264
	ds_read_b128 v[16:19], v136 offset:7888
	;; [unrolled: 1-line block ×6, first 2 shown]
.LBB0_21:
	s_or_b64 exec, exec, s[2:3]
	v_mul_u32_u24_e32 v73, 5, v72
	v_lshlrev_b32_e32 v73, 4, v73
	v_mov_b32_e32 v76, s9
	v_add_co_u32_e64 v73, s[2:3], s8, v73
	v_addc_co_u32_e64 v102, s[2:3], 0, v76, s[2:3]
	s_movk_i32 s2, 0x1100
	v_add_co_u32_e64 v76, s[2:3], s2, v73
	v_addc_co_u32_e64 v77, s[2:3], 0, v102, s[2:3]
	s_movk_i32 s10, 0x1000
	v_add_co_u32_e64 v98, s[2:3], s10, v73
	v_addc_co_u32_e64 v99, s[2:3], 0, v102, s[2:3]
	global_load_dwordx4 v[78:81], v[98:99], off offset:256
	global_load_dwordx4 v[82:85], v[76:77], off offset:48
	;; [unrolled: 1-line block ×5, first 2 shown]
	s_movk_i32 s2, 0x3000
	v_add_co_u32_e64 v76, s[2:3], s2, v73
	s_movk_i32 s4, 0x30e0
	v_addc_co_u32_e64 v77, s[2:3], 0, v102, s[2:3]
	v_add_co_u32_e64 v118, s[2:3], s4, v73
	global_load_dwordx4 v[98:101], v[76:77], off offset:224
	v_addc_co_u32_e64 v119, s[2:3], 0, v102, s[2:3]
	global_load_dwordx4 v[102:105], v[118:119], off offset:16
	global_load_dwordx4 v[106:109], v[118:119], off offset:32
	;; [unrolled: 1-line block ×4, first 2 shown]
	s_mov_b32 s2, 0xe8584caa
	s_mov_b32 s3, 0x3febb67a
	;; [unrolled: 1-line block ×4, first 2 shown]
	v_mov_b32_e32 v77, 0
	s_waitcnt vmcnt(0) lgkmcnt(0)
	s_barrier
	v_mul_f64 v[118:119], v[54:55], v[80:81]
	v_mul_f64 v[80:81], v[52:53], v[80:81]
	;; [unrolled: 1-line block ×10, first 2 shown]
	v_fma_f64 v[54:55], v[54:55], v[78:79], v[80:81]
	v_fma_f64 v[56:57], v[56:57], v[90:91], -v[120:121]
	v_fma_f64 v[58:59], v[58:59], v[90:91], v[92:93]
	v_mul_f64 v[130:131], v[38:39], v[104:105]
	v_mul_f64 v[104:105], v[36:37], v[104:105]
	;; [unrolled: 1-line block ×3, first 2 shown]
	v_fma_f64 v[62:63], v[62:63], v[86:87], v[88:89]
	v_fma_f64 v[66:67], v[66:67], v[82:83], v[84:85]
	;; [unrolled: 1-line block ×3, first 2 shown]
	v_mul_f64 v[128:129], v[34:35], v[100:101]
	v_mul_f64 v[100:101], v[32:33], v[100:101]
	;; [unrolled: 1-line block ×3, first 2 shown]
	v_fma_f64 v[60:61], v[60:61], v[86:87], -v[122:123]
	v_fma_f64 v[64:65], v[64:65], v[82:83], -v[124:125]
	;; [unrolled: 1-line block ×3, first 2 shown]
	v_mul_f64 v[134:135], v[46:47], v[112:113]
	v_fma_f64 v[52:53], v[52:53], v[78:79], -v[118:119]
	v_fma_f64 v[82:83], v[36:37], v[102:103], -v[130:131]
	v_fma_f64 v[84:85], v[38:39], v[102:103], v[104:105]
	v_fma_f64 v[86:87], v[40:41], v[106:107], -v[132:133]
	v_add_f64 v[36:37], v[58:59], -v[66:67]
	v_add_f64 v[38:39], v[30:31], v[58:59]
	v_add_f64 v[40:41], v[58:59], v[66:67]
	v_add_f64 v[58:59], v[62:63], -v[70:71]
	v_add_f64 v[92:93], v[54:55], v[62:63]
	v_add_f64 v[62:63], v[62:63], v[70:71]
	v_fma_f64 v[78:79], v[32:33], v[98:99], -v[128:129]
	v_fma_f64 v[80:81], v[34:35], v[98:99], v[100:101]
	v_fma_f64 v[88:89], v[42:43], v[106:107], v[108:109]
	v_add_f64 v[32:33], v[28:29], v[56:57]
	v_add_f64 v[34:35], v[56:57], v[64:65]
	v_add_f64 v[42:43], v[56:57], -v[64:65]
	v_add_f64 v[56:57], v[60:61], v[68:69]
	v_mul_f64 v[112:113], v[44:45], v[112:113]
	v_fma_f64 v[90:91], v[44:45], v[110:111], -v[134:135]
	v_add_f64 v[44:45], v[52:53], v[60:61]
	v_add_f64 v[60:61], v[60:61], -v[68:69]
	v_fma_f64 v[54:55], v[62:63], -0.5, v[54:55]
	v_mul_f64 v[137:138], v[50:51], v[116:117]
	v_mul_f64 v[116:117], v[48:49], v[116:117]
	v_fma_f64 v[52:53], v[56:57], -0.5, v[52:53]
	v_fma_f64 v[28:29], v[34:35], -0.5, v[28:29]
	v_add_f64 v[34:35], v[38:39], v[66:67]
	v_add_f64 v[38:39], v[44:45], v[68:69]
	;; [unrolled: 1-line block ×3, first 2 shown]
	v_fma_f64 v[44:45], v[60:61], s[4:5], v[54:55]
	v_fma_f64 v[48:49], v[48:49], v[114:115], -v[137:138]
	v_fma_f64 v[50:51], v[50:51], v[114:115], v[116:117]
	v_fma_f64 v[56:57], v[58:59], s[4:5], v[52:53]
	v_fma_f64 v[52:53], v[58:59], s[2:3], v[52:53]
	v_fma_f64 v[46:47], v[46:47], v[110:111], v[112:113]
	v_add_f64 v[94:95], v[24:25], v[82:83]
	v_fma_f64 v[54:55], v[60:61], s[2:3], v[54:55]
	v_mul_f64 v[66:67], v[44:45], s[2:3]
	v_add_f64 v[102:103], v[86:87], v[48:49]
	v_add_f64 v[106:107], v[88:89], v[50:51]
	v_mul_f64 v[68:69], v[56:57], -0.5
	v_fma_f64 v[30:31], v[40:41], -0.5, v[30:31]
	v_add_f64 v[40:41], v[92:93], v[70:71]
	v_fma_f64 v[58:59], v[96:97], -0.5, v[24:25]
	v_fma_f64 v[24:25], v[36:37], s[2:3], v[28:29]
	v_mul_f64 v[70:71], v[52:53], s[4:5]
	v_fma_f64 v[52:53], v[52:53], 0.5, v[66:67]
	v_add_f64 v[98:99], v[84:85], -v[46:47]
	v_add_f64 v[104:105], v[88:89], -v[50:51]
	;; [unrolled: 1-line block ×3, first 2 shown]
	v_add_f64 v[32:33], v[32:33], v[64:65]
	v_add_f64 v[62:63], v[94:95], v[90:91]
	v_fma_f64 v[60:61], v[102:103], -0.5, v[78:79]
	v_fma_f64 v[64:65], v[106:107], -0.5, v[80:81]
	v_mul_f64 v[92:93], v[54:55], -0.5
	v_fma_f64 v[94:95], v[36:37], s[4:5], v[28:29]
	v_fma_f64 v[54:55], v[54:55], s[2:3], v[68:69]
	v_add_f64 v[36:37], v[24:25], v[52:53]
	v_add_f64 v[24:25], v[24:25], -v[52:53]
	v_add_f64 v[52:53], v[26:27], v[84:85]
	v_add_f64 v[100:101], v[84:85], v[46:47]
	v_fma_f64 v[96:97], v[42:43], s[4:5], v[30:31]
	v_fma_f64 v[102:103], v[42:43], s[2:3], v[30:31]
	v_fma_f64 v[66:67], v[44:45], 0.5, v[70:71]
	v_add_f64 v[30:31], v[34:35], v[40:41]
	v_add_f64 v[34:35], v[34:35], -v[40:41]
	v_fma_f64 v[68:69], v[98:99], s[2:3], v[58:59]
	v_add_f64 v[40:41], v[94:95], v[54:55]
	v_add_f64 v[44:45], v[94:95], -v[54:55]
	v_fma_f64 v[70:71], v[98:99], s[4:5], v[58:59]
	v_fma_f64 v[54:55], v[108:109], s[4:5], v[64:65]
	;; [unrolled: 1-line block ×5, first 2 shown]
	v_add_f64 v[84:85], v[52:53], v[46:47]
	v_add_f64 v[46:47], v[78:79], v[86:87]
	;; [unrolled: 1-line block ×3, first 2 shown]
	v_fma_f64 v[26:27], v[100:101], -0.5, v[26:27]
	v_add_f64 v[82:83], v[82:83], -v[90:91]
	v_mul_f64 v[52:53], v[54:55], s[2:3]
	v_mul_f64 v[86:87], v[60:61], s[4:5]
	v_mul_f64 v[78:79], v[58:59], -0.5
	v_mul_f64 v[88:89], v[64:65], -0.5
	v_fma_f64 v[56:57], v[56:57], s[4:5], v[92:93]
	v_add_f64 v[92:93], v[46:47], v[48:49]
	v_add_f64 v[80:81], v[80:81], v[50:51]
	v_fma_f64 v[90:91], v[82:83], s[4:5], v[26:27]
	v_fma_f64 v[94:95], v[60:61], 0.5, v[52:53]
	v_fma_f64 v[86:87], v[54:55], 0.5, v[86:87]
	v_add_f64 v[28:29], v[32:33], v[38:39]
	v_fma_f64 v[82:83], v[82:83], s[2:3], v[26:27]
	v_fma_f64 v[78:79], v[64:65], s[2:3], v[78:79]
	;; [unrolled: 1-line block ×3, first 2 shown]
	v_add_f64 v[32:33], v[32:33], -v[38:39]
	v_add_f64 v[38:39], v[96:97], v[66:67]
	v_add_f64 v[42:43], v[102:103], v[56:57]
	v_add_f64 v[26:27], v[96:97], -v[66:67]
	v_add_f64 v[46:47], v[102:103], -v[56:57]
	v_add_f64 v[48:49], v[62:63], v[92:93]
	v_add_f64 v[50:51], v[84:85], v[80:81]
	v_add_f64 v[52:53], v[68:69], v[94:95]
	v_add_f64 v[54:55], v[90:91], v[86:87]
	v_add_f64 v[56:57], v[70:71], v[78:79]
	v_add_f64 v[58:59], v[82:83], v[88:89]
	v_add_f64 v[60:61], v[62:63], -v[92:93]
	v_add_f64 v[64:65], v[68:69], -v[94:95]
	;; [unrolled: 1-line block ×6, first 2 shown]
	ds_write_b128 v136, v[28:31]
	ds_write_b128 v136, v[36:39] offset:4624
	ds_write_b128 v136, v[40:43] offset:9248
	;; [unrolled: 1-line block ×11, first 2 shown]
	s_and_saveexec_b64 s[6:7], vcc
	s_cbranch_execz .LBB0_23
; %bb.22:
	v_add_u32_e32 v24, 0xcc, v72
	v_add_u32_e32 v25, 0xffffffab, v72
	v_cndmask_b32_e32 v24, v25, v24, vcc
	v_mul_i32_i24_e32 v76, 5, v24
	v_lshlrev_b64 v[24:25], 4, v[76:77]
	v_mov_b32_e32 v26, s9
	v_add_co_u32_e32 v24, vcc, s8, v24
	v_addc_co_u32_e32 v32, vcc, v26, v25, vcc
	v_add_co_u32_e32 v44, vcc, 0x1100, v24
	v_addc_co_u32_e32 v45, vcc, 0, v32, vcc
	v_add_co_u32_e32 v46, vcc, s10, v24
	global_load_dwordx4 v[24:27], v[44:45], off offset:32
	global_load_dwordx4 v[28:31], v[44:45], off offset:16
	v_addc_co_u32_e32 v47, vcc, 0, v32, vcc
	global_load_dwordx4 v[32:35], v[46:47], off offset:320
	global_load_dwordx4 v[36:39], v[44:45], off offset:48
	global_load_dwordx4 v[40:43], v[46:47], off offset:256
	s_waitcnt vmcnt(4)
	v_mul_f64 v[46:47], v[10:11], v[26:27]
	v_mul_f64 v[26:27], v[8:9], v[26:27]
	s_waitcnt vmcnt(2)
	v_mul_f64 v[48:49], v[4:5], v[34:35]
	v_mul_f64 v[34:35], v[6:7], v[34:35]
	;; [unrolled: 1-line block ×4, first 2 shown]
	s_waitcnt vmcnt(1)
	v_mul_f64 v[50:51], v[2:3], v[38:39]
	v_mul_f64 v[38:39], v[0:1], v[38:39]
	s_waitcnt vmcnt(0)
	v_mul_f64 v[52:53], v[18:19], v[42:43]
	v_mul_f64 v[42:43], v[16:17], v[42:43]
	v_fma_f64 v[8:9], v[8:9], v[24:25], -v[46:47]
	v_fma_f64 v[10:11], v[10:11], v[24:25], v[26:27]
	v_fma_f64 v[6:7], v[6:7], v[32:33], v[48:49]
	v_fma_f64 v[4:5], v[4:5], v[32:33], -v[34:35]
	v_fma_f64 v[14:15], v[14:15], v[28:29], v[30:31]
	v_fma_f64 v[12:13], v[12:13], v[28:29], -v[44:45]
	;; [unrolled: 2-line block ×4, first 2 shown]
	v_add_f64 v[24:25], v[10:11], v[6:7]
	v_add_f64 v[26:27], v[8:9], v[4:5]
	v_add_f64 v[36:37], v[10:11], -v[6:7]
	v_add_f64 v[30:31], v[20:21], v[12:13]
	v_add_f64 v[34:35], v[14:15], v[2:3]
	v_add_f64 v[38:39], v[8:9], -v[4:5]
	v_add_f64 v[10:11], v[18:19], v[10:11]
	v_add_f64 v[28:29], v[22:23], v[14:15]
	v_fma_f64 v[24:25], v[24:25], -0.5, v[18:19]
	v_fma_f64 v[26:27], v[26:27], -0.5, v[16:17]
	v_add_f64 v[32:33], v[12:13], -v[0:1]
	v_add_f64 v[12:13], v[12:13], v[0:1]
	v_add_f64 v[18:19], v[30:31], v[0:1]
	v_fma_f64 v[0:1], v[34:35], -0.5, v[22:23]
	v_add_f64 v[6:7], v[10:11], v[6:7]
	v_add_f64 v[8:9], v[16:17], v[8:9]
	v_fma_f64 v[10:11], v[38:39], s[4:5], v[24:25]
	v_fma_f64 v[30:31], v[36:37], s[2:3], v[26:27]
	v_add_f64 v[16:17], v[28:29], v[2:3]
	v_fma_f64 v[28:29], v[38:39], s[2:3], v[24:25]
	v_fma_f64 v[22:23], v[36:37], s[4:5], v[26:27]
	v_add_f64 v[14:15], v[14:15], -v[2:3]
	v_fma_f64 v[12:13], v[12:13], -0.5, v[20:21]
	v_fma_f64 v[24:25], v[32:33], s[2:3], v[0:1]
	v_fma_f64 v[26:27], v[32:33], s[4:5], v[0:1]
	v_mul_f64 v[20:21], v[30:31], s[4:5]
	v_mul_f64 v[32:33], v[10:11], s[2:3]
	v_add_f64 v[4:5], v[8:9], v[4:5]
	v_mul_f64 v[8:9], v[28:29], -0.5
	v_mul_f64 v[34:35], v[22:23], -0.5
	v_fma_f64 v[36:37], v[14:15], s[4:5], v[12:13]
	v_fma_f64 v[12:13], v[14:15], s[2:3], v[12:13]
	v_add_f64 v[2:3], v[16:17], -v[6:7]
	v_fma_f64 v[20:21], v[10:11], 0.5, v[20:21]
	v_fma_f64 v[30:31], v[30:31], 0.5, v[32:33]
	v_add_f64 v[0:1], v[18:19], -v[4:5]
	v_fma_f64 v[8:9], v[22:23], s[4:5], v[8:9]
	v_fma_f64 v[28:29], v[28:29], s[2:3], v[34:35]
	v_add_f64 v[6:7], v[16:17], v[6:7]
	v_add_f64 v[4:5], v[18:19], v[4:5]
	v_add_f64 v[14:15], v[26:27], -v[20:21]
	v_add_f64 v[22:23], v[26:27], v[20:21]
	v_add_f64 v[20:21], v[12:13], v[30:31]
	;; [unrolled: 1-line block ×4, first 2 shown]
	v_add_f64 v[12:13], v[12:13], -v[30:31]
	v_add_f64 v[10:11], v[24:25], -v[8:9]
	;; [unrolled: 1-line block ×3, first 2 shown]
	ds_write_b128 v136, v[4:7] offset:3264
	ds_write_b128 v136, v[0:3] offset:17136
	;; [unrolled: 1-line block ×6, first 2 shown]
.LBB0_23:
	s_or_b64 exec, exec, s[6:7]
	s_waitcnt lgkmcnt(0)
	s_barrier
	s_and_saveexec_b64 s[2:3], s[0:1]
	s_cbranch_execz .LBB0_25
; %bb.24:
	v_lshl_add_u32 v10, v72, 4, 0
	v_mov_b32_e32 v73, 0
	ds_read_b128 v[0:3], v10
	v_mov_b32_e32 v4, s13
	v_add_co_u32_e32 v11, vcc, s12, v74
	v_addc_co_u32_e32 v12, vcc, v4, v75, vcc
	v_lshlrev_b64 v[4:5], 4, v[72:73]
	v_add_co_u32_e32 v8, vcc, v11, v4
	v_addc_co_u32_e32 v9, vcc, v12, v5, vcc
	ds_read_b128 v[4:7], v10 offset:1632
	s_waitcnt lgkmcnt(1)
	global_store_dwordx4 v[8:9], v[0:3], off
	s_nop 0
	v_add_u32_e32 v0, 0x66, v72
	v_mov_b32_e32 v1, v73
	v_lshlrev_b64 v[0:1], 4, v[0:1]
	v_add_co_u32_e32 v0, vcc, v11, v0
	v_addc_co_u32_e32 v1, vcc, v12, v1, vcc
	s_waitcnt lgkmcnt(0)
	global_store_dwordx4 v[0:1], v[4:7], off
	ds_read_b128 v[0:3], v10 offset:3264
	v_add_u32_e32 v4, 0xcc, v72
	v_mov_b32_e32 v5, v73
	v_lshlrev_b64 v[4:5], 4, v[4:5]
	v_add_co_u32_e32 v8, vcc, v11, v4
	v_addc_co_u32_e32 v9, vcc, v12, v5, vcc
	ds_read_b128 v[4:7], v10 offset:4896
	s_waitcnt lgkmcnt(1)
	global_store_dwordx4 v[8:9], v[0:3], off
	s_nop 0
	v_add_u32_e32 v0, 0x132, v72
	v_mov_b32_e32 v1, v73
	v_lshlrev_b64 v[0:1], 4, v[0:1]
	v_add_co_u32_e32 v0, vcc, v11, v0
	v_addc_co_u32_e32 v1, vcc, v12, v1, vcc
	s_waitcnt lgkmcnt(0)
	global_store_dwordx4 v[0:1], v[4:7], off
	ds_read_b128 v[0:3], v10 offset:6528
	v_add_u32_e32 v4, 0x198, v72
	v_mov_b32_e32 v5, v73
	;; [unrolled: 17-line block ×7, first 2 shown]
	v_lshlrev_b64 v[4:5], 4, v[4:5]
	v_add_co_u32_e32 v8, vcc, v11, v4
	v_addc_co_u32_e32 v9, vcc, v12, v5, vcc
	ds_read_b128 v[4:7], v10 offset:24480
	s_waitcnt lgkmcnt(1)
	global_store_dwordx4 v[8:9], v[0:3], off
	s_nop 0
	v_add_u32_e32 v0, 0x5fa, v72
	v_mov_b32_e32 v1, v73
	v_lshlrev_b64 v[0:1], 4, v[0:1]
	v_add_u32_e32 v72, 0x660, v72
	v_add_co_u32_e32 v0, vcc, v11, v0
	v_addc_co_u32_e32 v1, vcc, v12, v1, vcc
	s_waitcnt lgkmcnt(0)
	global_store_dwordx4 v[0:1], v[4:7], off
	ds_read_b128 v[0:3], v10 offset:26112
	v_lshlrev_b64 v[4:5], 4, v[72:73]
	v_add_co_u32_e32 v4, vcc, v11, v4
	v_addc_co_u32_e32 v5, vcc, v12, v5, vcc
	s_waitcnt lgkmcnt(0)
	global_store_dwordx4 v[4:5], v[0:3], off
.LBB0_25:
	s_endpgm
	.section	.rodata,"a",@progbits
	.p2align	6, 0x0
	.amdhsa_kernel fft_rtc_fwd_len1734_factors_17_17_6_wgs_102_tpt_102_halfLds_dp_ip_CI_unitstride_sbrr_C2R_dirReg
		.amdhsa_group_segment_fixed_size 0
		.amdhsa_private_segment_fixed_size 0
		.amdhsa_kernarg_size 88
		.amdhsa_user_sgpr_count 6
		.amdhsa_user_sgpr_private_segment_buffer 1
		.amdhsa_user_sgpr_dispatch_ptr 0
		.amdhsa_user_sgpr_queue_ptr 0
		.amdhsa_user_sgpr_kernarg_segment_ptr 1
		.amdhsa_user_sgpr_dispatch_id 0
		.amdhsa_user_sgpr_flat_scratch_init 0
		.amdhsa_user_sgpr_private_segment_size 0
		.amdhsa_uses_dynamic_stack 0
		.amdhsa_system_sgpr_private_segment_wavefront_offset 0
		.amdhsa_system_sgpr_workgroup_id_x 1
		.amdhsa_system_sgpr_workgroup_id_y 0
		.amdhsa_system_sgpr_workgroup_id_z 0
		.amdhsa_system_sgpr_workgroup_info 0
		.amdhsa_system_vgpr_workitem_id 0
		.amdhsa_next_free_vgpr 171
		.amdhsa_next_free_sgpr 56
		.amdhsa_reserve_vcc 1
		.amdhsa_reserve_flat_scratch 0
		.amdhsa_float_round_mode_32 0
		.amdhsa_float_round_mode_16_64 0
		.amdhsa_float_denorm_mode_32 3
		.amdhsa_float_denorm_mode_16_64 3
		.amdhsa_dx10_clamp 1
		.amdhsa_ieee_mode 1
		.amdhsa_fp16_overflow 0
		.amdhsa_exception_fp_ieee_invalid_op 0
		.amdhsa_exception_fp_denorm_src 0
		.amdhsa_exception_fp_ieee_div_zero 0
		.amdhsa_exception_fp_ieee_overflow 0
		.amdhsa_exception_fp_ieee_underflow 0
		.amdhsa_exception_fp_ieee_inexact 0
		.amdhsa_exception_int_div_zero 0
	.end_amdhsa_kernel
	.text
.Lfunc_end0:
	.size	fft_rtc_fwd_len1734_factors_17_17_6_wgs_102_tpt_102_halfLds_dp_ip_CI_unitstride_sbrr_C2R_dirReg, .Lfunc_end0-fft_rtc_fwd_len1734_factors_17_17_6_wgs_102_tpt_102_halfLds_dp_ip_CI_unitstride_sbrr_C2R_dirReg
                                        ; -- End function
	.section	.AMDGPU.csdata,"",@progbits
; Kernel info:
; codeLenInByte = 19388
; NumSgprs: 60
; NumVgprs: 171
; ScratchSize: 0
; MemoryBound: 0
; FloatMode: 240
; IeeeMode: 1
; LDSByteSize: 0 bytes/workgroup (compile time only)
; SGPRBlocks: 7
; VGPRBlocks: 42
; NumSGPRsForWavesPerEU: 60
; NumVGPRsForWavesPerEU: 171
; Occupancy: 1
; WaveLimiterHint : 1
; COMPUTE_PGM_RSRC2:SCRATCH_EN: 0
; COMPUTE_PGM_RSRC2:USER_SGPR: 6
; COMPUTE_PGM_RSRC2:TRAP_HANDLER: 0
; COMPUTE_PGM_RSRC2:TGID_X_EN: 1
; COMPUTE_PGM_RSRC2:TGID_Y_EN: 0
; COMPUTE_PGM_RSRC2:TGID_Z_EN: 0
; COMPUTE_PGM_RSRC2:TIDIG_COMP_CNT: 0
	.type	__hip_cuid_fc07774fea6a7b4,@object ; @__hip_cuid_fc07774fea6a7b4
	.section	.bss,"aw",@nobits
	.globl	__hip_cuid_fc07774fea6a7b4
__hip_cuid_fc07774fea6a7b4:
	.byte	0                               ; 0x0
	.size	__hip_cuid_fc07774fea6a7b4, 1

	.ident	"AMD clang version 19.0.0git (https://github.com/RadeonOpenCompute/llvm-project roc-6.4.0 25133 c7fe45cf4b819c5991fe208aaa96edf142730f1d)"
	.section	".note.GNU-stack","",@progbits
	.addrsig
	.addrsig_sym __hip_cuid_fc07774fea6a7b4
	.amdgpu_metadata
---
amdhsa.kernels:
  - .args:
      - .actual_access:  read_only
        .address_space:  global
        .offset:         0
        .size:           8
        .value_kind:     global_buffer
      - .offset:         8
        .size:           8
        .value_kind:     by_value
      - .actual_access:  read_only
        .address_space:  global
        .offset:         16
        .size:           8
        .value_kind:     global_buffer
      - .actual_access:  read_only
        .address_space:  global
        .offset:         24
        .size:           8
        .value_kind:     global_buffer
      - .offset:         32
        .size:           8
        .value_kind:     by_value
      - .actual_access:  read_only
        .address_space:  global
        .offset:         40
        .size:           8
        .value_kind:     global_buffer
      - .actual_access:  read_only
        .address_space:  global
        .offset:         48
        .size:           8
        .value_kind:     global_buffer
      - .offset:         56
        .size:           4
        .value_kind:     by_value
      - .actual_access:  read_only
        .address_space:  global
        .offset:         64
        .size:           8
        .value_kind:     global_buffer
      - .actual_access:  read_only
        .address_space:  global
        .offset:         72
        .size:           8
        .value_kind:     global_buffer
      - .address_space:  global
        .offset:         80
        .size:           8
        .value_kind:     global_buffer
    .group_segment_fixed_size: 0
    .kernarg_segment_align: 8
    .kernarg_segment_size: 88
    .language:       OpenCL C
    .language_version:
      - 2
      - 0
    .max_flat_workgroup_size: 102
    .name:           fft_rtc_fwd_len1734_factors_17_17_6_wgs_102_tpt_102_halfLds_dp_ip_CI_unitstride_sbrr_C2R_dirReg
    .private_segment_fixed_size: 0
    .sgpr_count:     60
    .sgpr_spill_count: 0
    .symbol:         fft_rtc_fwd_len1734_factors_17_17_6_wgs_102_tpt_102_halfLds_dp_ip_CI_unitstride_sbrr_C2R_dirReg.kd
    .uniform_work_group_size: 1
    .uses_dynamic_stack: false
    .vgpr_count:     171
    .vgpr_spill_count: 0
    .wavefront_size: 64
amdhsa.target:   amdgcn-amd-amdhsa--gfx906
amdhsa.version:
  - 1
  - 2
...

	.end_amdgpu_metadata
